;; amdgpu-corpus repo=ROCm/rocFFT kind=compiled arch=gfx950 opt=O3
	.text
	.amdgcn_target "amdgcn-amd-amdhsa--gfx950"
	.amdhsa_code_object_version 6
	.protected	bluestein_single_fwd_len1701_dim1_dp_op_CI_CI ; -- Begin function bluestein_single_fwd_len1701_dim1_dp_op_CI_CI
	.globl	bluestein_single_fwd_len1701_dim1_dp_op_CI_CI
	.p2align	8
	.type	bluestein_single_fwd_len1701_dim1_dp_op_CI_CI,@function
bluestein_single_fwd_len1701_dim1_dp_op_CI_CI: ; @bluestein_single_fwd_len1701_dim1_dp_op_CI_CI
; %bb.0:
	s_load_dwordx4 s[12:15], s[0:1], 0x28
	v_mul_u32_u24_e32 v1, 0x411, v0
	v_add_u32_sdwa v180, s2, v1 dst_sel:DWORD dst_unused:UNUSED_PAD src0_sel:DWORD src1_sel:WORD_1
	v_mov_b32_e32 v181, 0
	s_waitcnt lgkmcnt(0)
	v_cmp_gt_u64_e32 vcc, s[12:13], v[180:181]
	s_and_saveexec_b64 s[2:3], vcc
	s_cbranch_execz .LBB0_10
; %bb.1:
	s_load_dwordx4 s[4:7], s[0:1], 0x18
	s_load_dwordx4 s[8:11], s[0:1], 0x0
	v_mov_b32_e32 v2, s14
	v_mov_b32_e32 v3, s15
	;; [unrolled: 1-line block ×3, first 2 shown]
	s_waitcnt lgkmcnt(0)
	s_load_dwordx4 s[12:15], s[4:5], 0x0
	v_mul_lo_u16_sdwa v1, v1, v4 dst_sel:DWORD dst_unused:UNUSED_PAD src0_sel:WORD_1 src1_sel:DWORD
	v_sub_u16_e32 v110, v0, v1
	v_mov_b32_e32 v56, 0x2370
	v_lshlrev_b32_e32 v108, 4, v110
	s_waitcnt lgkmcnt(0)
	v_mad_u64_u32 v[0:1], s[2:3], s14, v180, 0
	v_mov_b32_e32 v4, v1
	v_mad_u64_u32 v[4:5], s[2:3], s15, v180, v[4:5]
	v_mov_b32_e32 v1, v4
	v_mad_u64_u32 v[4:5], s[2:3], s12, v110, 0
	v_mov_b32_e32 v6, v5
	v_mad_u64_u32 v[6:7], s[2:3], s13, v110, v[6:7]
	v_mov_b32_e32 v5, v6
	v_lshl_add_u64 v[0:1], v[0:1], 4, v[2:3]
	v_lshl_add_u64 v[0:1], v[4:5], 4, v[0:1]
	v_mov_b32_e32 v109, v181
	v_mad_u64_u32 v[4:5], s[2:3], s12, v56, v[0:1]
	v_lshl_add_u64 v[48:49], s[8:9], 0, v[108:109]
	s_movk_i32 s3, 0x2000
	global_load_dwordx4 v[40:43], v[0:1], off
	global_load_dwordx4 v[112:115], v108, s[8:9]
	s_mul_i32 s2, s13, 0x2370
	v_add_co_u32_e32 v24, vcc, s3, v48
	v_add_u32_e32 v5, s2, v5
	s_nop 0
	v_addc_co_u32_e32 v25, vcc, 0, v49, vcc
	s_movk_i32 s3, 0x4000
	global_load_dwordx4 v[62:65], v[24:25], off offset:880
	v_mad_u64_u32 v[6:7], s[4:5], s12, v56, v[4:5]
	v_add_co_u32_e32 v50, vcc, s3, v48
	v_add_u32_e32 v7, s2, v7
	global_load_dwordx4 v[44:47], v[4:5], off
	global_load_dwordx4 v[0:3], v[6:7], off
	v_addc_co_u32_e32 v51, vcc, 0, v49, vcc
	v_mov_b32_e32 v57, 0xffffbd10
	s_mul_i32 s3, s13, 0xffffbd10
	global_load_dwordx4 v[66:69], v[50:51], off offset:1760
	v_mad_u64_u32 v[8:9], s[4:5], s12, v57, v[6:7]
	s_sub_i32 s3, s3, s12
	v_add_u32_e32 v9, s3, v9
	global_load_dwordx4 v[70:73], v108, s[8:9] offset:1008
	global_load_dwordx4 v[4:7], v[8:9], off
	v_mad_u64_u32 v[12:13], s[4:5], s12, v56, v[8:9]
	v_add_u32_e32 v13, s2, v13
	global_load_dwordx4 v[8:11], v[12:13], off
	global_load_dwordx4 v[74:77], v[24:25], off offset:1888
	v_mad_u64_u32 v[16:17], s[4:5], s12, v56, v[12:13]
	v_add_u32_e32 v17, s2, v17
	global_load_dwordx4 v[12:15], v[16:17], off
	global_load_dwordx4 v[78:81], v[50:51], off offset:2768
	v_mad_u64_u32 v[16:17], s[4:5], s12, v57, v[16:17]
	v_add_u32_e32 v17, s3, v17
	global_load_dwordx4 v[20:23], v[16:17], off
	global_load_dwordx4 v[82:85], v108, s[8:9] offset:2016
	v_mad_u64_u32 v[16:17], s[4:5], s12, v56, v[16:17]
	v_add_u32_e32 v17, s2, v17
	global_load_dwordx4 v[28:31], v[16:17], off
	global_load_dwordx4 v[86:89], v[24:25], off offset:2896
	v_mad_u64_u32 v[16:17], s[4:5], s12, v56, v[16:17]
	v_add_u32_e32 v17, s2, v17
	global_load_dwordx4 v[32:35], v[16:17], off
	global_load_dwordx4 v[90:93], v[50:51], off offset:3776
	v_mad_u64_u32 v[16:17], s[4:5], s12, v57, v[16:17]
	v_add_u32_e32 v17, s3, v17
	global_load_dwordx4 v[36:39], v[16:17], off
	global_load_dwordx4 v[94:97], v108, s[8:9] offset:3024
	v_mad_u64_u32 v[26:27], s[4:5], s12, v56, v[16:17]
	v_add_u32_e32 v27, s2, v27
	global_load_dwordx4 v[16:19], v[26:27], off
	global_load_dwordx4 v[98:101], v[24:25], off offset:3904
	v_mad_u64_u32 v[54:55], s[4:5], s12, v56, v[26:27]
	s_movk_i32 s4, 0x5000
	s_nop 0
	v_add_co_u32_e32 v52, vcc, s4, v48
	v_add_u32_e32 v55, s2, v55
	s_nop 0
	v_addc_co_u32_e32 v53, vcc, 0, v49, vcc
	global_load_dwordx4 v[24:27], v[54:55], off
	global_load_dwordx4 v[102:105], v[52:53], off offset:688
	s_movk_i32 s13, 0x3000
	s_load_dwordx4 s[4:7], s[6:7], 0x0
	v_accvgpr_write_b32 a52, v180
	s_waitcnt vmcnt(22)
	scratch_store_dwordx4 off, v[112:115], off offset:520 ; 16-byte Folded Spill
	v_mul_f64 v[58:59], v[42:43], v[114:115]
	v_fmac_f64_e32 v[58:59], v[40:41], v[112:113]
	v_mul_f64 v[40:41], v[40:41], v[114:115]
	v_fma_f64 v[60:61], v[42:43], v[112:113], -v[40:41]
	global_load_dwordx4 v[112:115], v[50:51], off offset:752
	ds_write_b128 v108, v[58:61]
	s_waitcnt vmcnt(23)
	scratch_store_dwordx4 off, v[62:65], off offset:8 ; 16-byte Folded Spill
	s_waitcnt vmcnt(23)
	v_mul_f64 v[40:41], v[46:47], v[64:65]
	v_mul_f64 v[42:43], v[44:45], v[64:65]
	v_fmac_f64_e32 v[40:41], v[44:45], v[62:63]
	v_fma_f64 v[42:43], v[46:47], v[62:63], -v[42:43]
	ds_write_b128 v108, v[40:43] offset:9072
	s_waitcnt vmcnt(21)
	v_mul_f64 v[40:41], v[2:3], v[68:69]
	v_fmac_f64_e32 v[40:41], v[0:1], v[66:67]
	v_mul_f64 v[0:1], v[0:1], v[68:69]
	v_fma_f64 v[42:43], v[2:3], v[66:67], -v[0:1]
	scratch_store_dwordx4 off, v[66:69], off offset:264 ; 16-byte Folded Spill
	s_waitcnt vmcnt(20)
	v_mul_f64 v[0:1], v[6:7], v[72:73]
	v_mul_f64 v[2:3], v[4:5], v[72:73]
	v_fmac_f64_e32 v[0:1], v[4:5], v[70:71]
	v_fma_f64 v[2:3], v[6:7], v[70:71], -v[2:3]
	ds_write_b128 v108, v[0:3] offset:1008
	s_waitcnt vmcnt(18)
	v_mul_f64 v[0:1], v[10:11], v[76:77]
	v_mul_f64 v[2:3], v[8:9], v[76:77]
	v_fmac_f64_e32 v[0:1], v[8:9], v[74:75]
	v_fma_f64 v[2:3], v[10:11], v[74:75], -v[2:3]
	ds_write_b128 v108, v[0:3] offset:10080
	;; [unrolled: 6-line block ×6, first 2 shown]
	s_waitcnt vmcnt(8)
	v_mul_f64 v[0:1], v[38:39], v[96:97]
	v_mul_f64 v[2:3], v[36:37], v[96:97]
	v_mad_u64_u32 v[4:5], s[14:15], s12, v57, v[54:55]
	v_fmac_f64_e32 v[0:1], v[36:37], v[94:95]
	v_fma_f64 v[2:3], v[38:39], v[94:95], -v[2:3]
	v_add_u32_e32 v5, s3, v5
	ds_write_b128 v108, v[40:43] offset:18144
	scratch_store_dwordx4 off, v[70:73], off offset:224 ; 16-byte Folded Spill
	scratch_store_dwordx4 off, v[74:77], off offset:164 ; 16-byte Folded Spill
	;; [unrolled: 1-line block ×7, first 2 shown]
	ds_write_b128 v108, v[0:3] offset:3024
	v_mad_u64_u32 v[8:9], s[14:15], s12, v56, v[4:5]
	v_add_co_u32_e32 v54, vcc, s13, v48
	global_load_dwordx4 v[0:3], v[4:5], off
	global_load_dwordx4 v[140:143], v108, s[8:9] offset:4032
	global_load_dwordx4 v[124:127], v[52:53], off offset:1696
	v_add_u32_e32 v9, s2, v9
	v_addc_co_u32_e32 v55, vcc, 0, v49, vcc
	global_load_dwordx4 v[4:7], v[8:9], off
	global_load_dwordx4 v[144:147], v[54:55], off offset:816
	v_mad_u64_u32 v[12:13], s[14:15], s12, v56, v[8:9]
	v_add_u32_e32 v13, s2, v13
	s_movk_i32 s13, 0x1000
	global_load_dwordx4 v[8:11], v[12:13], off
	v_mad_u64_u32 v[20:21], s[14:15], s12, v57, v[12:13]
	v_add_co_u32_e32 v66, vcc, s13, v48
	v_add_u32_e32 v21, s3, v21
	s_nop 0
	v_addc_co_u32_e32 v67, vcc, 0, v49, vcc
	global_load_dwordx4 v[136:139], v[66:67], off offset:944
	global_load_dwordx4 v[12:15], v[20:21], off
	v_mad_u64_u32 v[28:29], s[14:15], s12, v56, v[20:21]
	v_add_u32_e32 v29, s2, v29
	global_load_dwordx4 v[20:23], v[28:29], off
	global_load_dwordx4 v[132:135], v[54:55], off offset:1824
	v_mad_u64_u32 v[32:33], s[14:15], s12, v56, v[28:29]
	v_add_u32_e32 v33, s2, v33
	global_load_dwordx4 v[28:31], v[32:33], off
	global_load_dwordx4 v[128:131], v[52:53], off offset:2704
	;; [unrolled: 4-line block ×6, first 2 shown]
	v_mad_u64_u32 v[58:59], s[14:15], s12, v56, v[50:51]
	v_add_u32_e32 v59, s2, v59
	s_movk_i32 s13, 0x6000
	global_load_dwordx4 v[50:53], v[58:59], off
	global_load_dwordx4 v[86:89], v[54:55], off offset:3840
	v_mad_u64_u32 v[54:55], s[14:15], s12, v56, v[58:59]
	v_add_co_u32_e32 v48, vcc, s13, v48
	v_add_u32_e32 v55, s2, v55
	s_nop 0
	v_addc_co_u32_e32 v49, vcc, 0, v49, vcc
	global_load_dwordx4 v[58:61], v[54:55], off
	global_load_dwordx4 v[82:85], v[48:49], off offset:624
	v_mad_u64_u32 v[68:69], s[14:15], s12, v57, v[54:55]
	v_add_u32_e32 v69, s3, v69
	global_load_dwordx4 v[62:65], v[68:69], off
	global_load_dwordx4 v[78:81], v[66:67], off offset:3968
	v_mad_u64_u32 v[70:71], s[14:15], s12, v56, v[68:69]
	v_add_u32_e32 v71, s2, v71
	global_load_dwordx4 v[66:69], v[70:71], off
	v_mad_u64_u32 v[56:57], s[12:13], s12, v56, v[70:71]
	v_add_u32_e32 v57, s2, v57
	global_load_dwordx4 v[70:73], v[56:57], off
	global_load_dwordx4 v[74:77], v[48:49], off offset:1632
	s_waitcnt vmcnt(42)
	v_mul_f64 v[54:55], v[18:19], v[100:101]
	v_fmac_f64_e32 v[54:55], v[16:17], v[98:99]
	v_mul_f64 v[16:17], v[16:17], v[100:101]
	v_fma_f64 v[56:57], v[18:19], v[98:99], -v[16:17]
	s_waitcnt vmcnt(40)
	v_mul_f64 v[16:17], v[26:27], v[104:105]
	v_mul_f64 v[18:19], v[24:25], v[104:105]
	v_fmac_f64_e32 v[16:17], v[24:25], v[102:103]
	v_fma_f64 v[18:19], v[26:27], v[102:103], -v[18:19]
	ds_write_b128 v108, v[16:19] offset:21168
	s_waitcnt vmcnt(27)
	v_mul_f64 v[16:17], v[2:3], v[142:143]
	v_fmac_f64_e32 v[16:17], v[0:1], v[140:141]
	v_mul_f64 v[0:1], v[0:1], v[142:143]
	v_fma_f64 v[18:19], v[2:3], v[140:141], -v[0:1]
	scratch_store_dwordx4 off, v[98:101], off offset:504 ; 16-byte Folded Spill
	ds_write_b128 v108, v[54:57] offset:12096
	s_waitcnt vmcnt(25)
	v_mul_f64 v[0:1], v[6:7], v[146:147]
	v_mul_f64 v[2:3], v[4:5], v[146:147]
	v_fmac_f64_e32 v[0:1], v[4:5], v[144:145]
	v_fma_f64 v[2:3], v[6:7], v[144:145], -v[2:3]
	ds_write_b128 v108, v[0:3] offset:13104
	s_waitcnt vmcnt(24)
	v_mul_f64 v[0:1], v[10:11], v[126:127]
	v_mul_f64 v[2:3], v[8:9], v[126:127]
	v_fmac_f64_e32 v[0:1], v[8:9], v[124:125]
	v_fma_f64 v[2:3], v[10:11], v[124:125], -v[2:3]
	ds_write_b128 v108, v[0:3] offset:22176
	scratch_store_dwordx4 off, v[102:105], off offset:488 ; 16-byte Folded Spill
	scratch_store_dwordx4 off, v[140:143], off offset:472 ; 16-byte Folded Spill
	ds_write_b128 v108, v[16:19] offset:4032
	scratch_store_dwordx4 off, v[144:147], off offset:456 ; 16-byte Folded Spill
	s_waitcnt vmcnt(25)
	v_mul_f64 v[0:1], v[14:15], v[138:139]
	v_mul_f64 v[2:3], v[12:13], v[138:139]
	v_fmac_f64_e32 v[0:1], v[12:13], v[136:137]
	v_fma_f64 v[2:3], v[14:15], v[136:137], -v[2:3]
	ds_write_b128 v108, v[0:3] offset:5040
	s_waitcnt vmcnt(23)
	v_mul_f64 v[0:1], v[22:23], v[134:135]
	v_mul_f64 v[2:3], v[20:21], v[134:135]
	v_fmac_f64_e32 v[0:1], v[20:21], v[132:133]
	v_fma_f64 v[2:3], v[22:23], v[132:133], -v[2:3]
	ds_write_b128 v108, v[0:3] offset:14112
	;; [unrolled: 6-line block ×11, first 2 shown]
	s_waitcnt vmcnt(4)
	v_mul_f64 v[0:1], v[72:73], v[76:77]
	v_mul_f64 v[2:3], v[70:71], v[76:77]
	v_fmac_f64_e32 v[0:1], v[70:71], v[74:75]
	v_fma_f64 v[2:3], v[72:73], v[74:75], -v[2:3]
	scratch_store_dwordx4 off, v[124:127], off offset:440 ; 16-byte Folded Spill
	scratch_store_dwordx4 off, v[136:139], off offset:420 ; 16-byte Folded Spill
	;; [unrolled: 1-line block ×13, first 2 shown]
	ds_write_b128 v108, v[0:3] offset:26208
	s_waitcnt lgkmcnt(0)
	; wave barrier
	s_waitcnt lgkmcnt(0)
	ds_read_b128 v[0:3], v108
	ds_read_b128 v[4:7], v108 offset:1008
	ds_read_b128 v[32:35], v108 offset:18144
	;; [unrolled: 1-line block ×23, first 2 shown]
	s_waitcnt lgkmcnt(4)
	v_add_f64 v[56:57], v[0:1], v[52:53]
	v_add_f64 v[60:61], v[56:57], v[32:33]
	;; [unrolled: 1-line block ×4, first 2 shown]
	v_add_f64 v[74:75], v[52:53], -v[32:33]
	v_add_f64 v[32:33], v[4:5], v[40:41]
	v_add_f64 v[62:63], v[56:57], v[34:35]
	;; [unrolled: 1-line block ×8, first 2 shown]
	v_add_f64 v[72:73], v[54:55], -v[34:35]
	v_add_f64 v[76:77], v[54:55], v[34:35]
	v_add_f64 v[54:55], v[32:33], v[50:51]
	;; [unrolled: 1-line block ×4, first 2 shown]
	v_add_f64 v[116:117], v[44:45], -v[48:49]
	v_add_f64 v[48:49], v[32:33], v[64:65]
	v_add_f64 v[32:33], v[14:15], v[70:71]
	v_add_f64 v[104:105], v[46:47], -v[50:51]
	v_add_f64 v[122:123], v[46:47], v[50:51]
	v_add_f64 v[50:51], v[32:33], v[66:67]
	;; [unrolled: 1-line block ×8, first 2 shown]
	v_add_f64 v[92:93], v[40:41], -v[36:37]
	v_add_f64 v[40:41], v[32:33], v[96:97]
	v_add_f64 v[32:33], v[22:23], v[138:139]
	v_add_f64 v[82:83], v[42:43], -v[38:39]
	v_add_f64 v[102:103], v[42:43], v[38:39]
	v_add_f64 v[42:43], v[32:33], v[98:99]
	;; [unrolled: 1-line block ×4, first 2 shown]
	v_add_f64 v[124:125], v[70:71], -v[66:67]
	v_add_f64 v[134:135], v[70:71], v[66:67]
	v_add_f64 v[118:119], v[68:69], -v[64:65]
	v_add_f64 v[132:133], v[78:79], v[86:87]
	v_add_f64 v[126:127], v[80:81], -v[88:89]
	v_add_f64 v[128:129], v[80:81], v[88:89]
	v_add_f64 v[94:95], v[78:79], -v[86:87]
	v_add_f64 v[120:121], v[136:137], v[96:97]
	v_add_f64 v[106:107], v[138:139], -v[98:99]
	v_add_f64 v[112:113], v[138:139], v[98:99]
	v_add_f64 v[80:81], v[136:137], -v[96:97]
	s_waitcnt lgkmcnt(2)
	v_add_f64 v[36:37], v[32:33], v[144:145]
	v_add_f64 v[96:97], v[140:141], v[144:145]
	v_add_f64 v[86:87], v[142:143], -v[146:147]
	v_add_f64 v[32:33], v[26:27], v[142:143]
	v_add_f64 v[88:89], v[142:143], v[146:147]
	v_add_f64 v[70:71], v[140:141], -v[144:145]
	ds_read_b128 v[64:67], v108 offset:8064
	ds_read_b128 v[136:139], v108 offset:17136
	;; [unrolled: 1-line block ×3, first 2 shown]
	s_mov_b32 s14, 0
	v_mov_b32_e32 v111, s14
	s_mov_b64 s[14:15], 0x7e
	s_mov_b32 s2, 0xe8584caa
	v_fmac_f64_e32 v[4:5], -0.5, v[84:85]
	v_lshl_add_u64 v[84:85], v[110:111], 0, s[14:15]
	s_mov_b64 s[14:15], 0xbd
	s_mov_b32 s3, 0x3febb67a
	s_mov_b32 s13, 0xbfebb67a
	;; [unrolled: 1-line block ×3, first 2 shown]
	v_fmac_f64_e32 v[2:3], -0.5, v[76:77]
	v_lshl_add_u64 v[208:209], v[110:111], 0, s[14:15]
	s_mov_b64 s[14:15], 0xfc
	v_add_f64 v[38:39], v[32:33], v[146:147]
	s_waitcnt lgkmcnt(1)
	v_add_f64 v[146:147], v[66:67], v[138:139]
	s_waitcnt lgkmcnt(0)
	v_add_f64 v[158:159], v[138:139], -v[142:143]
	v_add_f64 v[160:161], v[138:139], v[142:143]
	v_fmac_f64_e32 v[0:1], -0.5, v[100:101]
	v_fma_f64 v[138:139], s[12:13], v[74:75], v[2:3]
	v_fmac_f64_e32 v[2:3], s[2:3], v[74:75]
	v_lshl_add_u64 v[74:75], v[110:111], 0, s[14:15]
	s_mov_b64 s[14:15], 0x13b
	v_add_f64 v[144:145], v[64:65], v[136:137]
	v_add_f64 v[156:157], v[136:137], v[140:141]
	v_add_f64 v[162:163], v[136:137], -v[140:141]
	v_fma_f64 v[136:137], s[2:3], v[72:73], v[0:1]
	v_fmac_f64_e32 v[0:1], s[12:13], v[72:73]
	v_lshl_add_u64 v[72:73], v[110:111], 0, s[14:15]
	v_mul_lo_u16_e32 v73, 3, v110
	v_lshl_add_u64 v[76:77], v[110:111], 0, 63
	v_lshlrev_b32_e32 v73, 4, v73
	v_fmac_f64_e32 v[6:7], -0.5, v[102:103]
	s_waitcnt lgkmcnt(0)
	; wave barrier
	ds_write_b128 v73, v[60:63]
	ds_write_b128 v73, v[136:139] offset:16
	ds_write_b128 v73, v[0:3] offset:32
	v_mul_u32_u24_e32 v0, 3, v76
	v_fma_f64 v[100:101], s[2:3], v[82:83], v[4:5]
	v_fmac_f64_e32 v[4:5], s[12:13], v[82:83]
	v_fma_f64 v[102:103], s[12:13], v[92:93], v[6:7]
	v_fmac_f64_e32 v[6:7], s[2:3], v[92:93]
	v_lshlrev_b32_e32 v0, 4, v0
	v_fmac_f64_e32 v[8:9], -0.5, v[114:115]
	v_fmac_f64_e32 v[10:11], -0.5, v[122:123]
	scratch_store_dword off, v73, off offset:396 ; 4-byte Folded Spill
	ds_write_b128 v0, v[56:59]
	ds_write_b128 v0, v[100:103] offset:16
	scratch_store_dword off, v0, off offset:392 ; 4-byte Folded Spill
	ds_write_b128 v0, v[4:7] offset:32
	v_mul_u32_u24_e32 v0, 3, v84
	v_add_f64 v[144:145], v[144:145], v[140:141]
	v_add_f64 v[146:147], v[146:147], v[142:143]
	v_fma_f64 v[140:141], s[2:3], v[104:105], v[8:9]
	v_fmac_f64_e32 v[8:9], s[12:13], v[104:105]
	v_fma_f64 v[142:143], s[12:13], v[116:117], v[10:11]
	v_fmac_f64_e32 v[10:11], s[2:3], v[116:117]
	v_lshlrev_b32_e32 v0, 4, v0
	v_add_f64 v[32:33], v[28:29], v[152:153]
	v_add_f64 v[34:35], v[30:31], v[154:155]
	v_fmac_f64_e32 v[12:13], -0.5, v[130:131]
	v_fmac_f64_e32 v[14:15], -0.5, v[134:135]
	ds_write_b128 v0, v[52:55]
	ds_write_b128 v0, v[140:143] offset:16
	scratch_store_dword off, v0, off offset:388 ; 4-byte Folded Spill
	ds_write_b128 v0, v[8:11] offset:32
	v_mul_u32_u24_e32 v0, 3, v208
	v_add_f64 v[32:33], v[32:33], v[148:149]
	v_add_f64 v[34:35], v[34:35], v[150:151]
	;; [unrolled: 1-line block ×3, first 2 shown]
	v_add_f64 v[90:91], v[154:155], -v[150:151]
	v_add_f64 v[78:79], v[154:155], v[150:151]
	v_add_f64 v[68:69], v[152:153], -v[148:149]
	v_fma_f64 v[148:149], s[2:3], v[124:125], v[12:13]
	v_fmac_f64_e32 v[12:13], s[12:13], v[124:125]
	v_fma_f64 v[150:151], s[12:13], v[118:119], v[14:15]
	v_fmac_f64_e32 v[14:15], s[2:3], v[118:119]
	v_lshlrev_b32_e32 v0, 4, v0
	v_fmac_f64_e32 v[16:17], -0.5, v[132:133]
	v_fmac_f64_e32 v[18:19], -0.5, v[128:129]
	ds_write_b128 v0, v[48:51]
	ds_write_b128 v0, v[148:151] offset:16
	scratch_store_dword off, v0, off offset:384 ; 4-byte Folded Spill
	ds_write_b128 v0, v[12:15] offset:32
	v_mul_u32_u24_e32 v0, 3, v74
	v_fma_f64 v[152:153], s[2:3], v[126:127], v[16:17]
	v_fmac_f64_e32 v[16:17], s[12:13], v[126:127]
	v_fma_f64 v[154:155], s[12:13], v[94:95], v[18:19]
	v_fmac_f64_e32 v[18:19], s[2:3], v[94:95]
	v_lshlrev_b32_e32 v0, 4, v0
	v_fmac_f64_e32 v[20:21], -0.5, v[120:121]
	v_fmac_f64_e32 v[22:23], -0.5, v[112:113]
	s_mov_b64 s[14:15], 0x17a
	ds_write_b128 v0, v[44:47]
	ds_write_b128 v0, v[152:155] offset:16
	scratch_store_dword off, v0, off offset:380 ; 4-byte Folded Spill
	ds_write_b128 v0, v[16:19] offset:32
	v_mul_u32_u24_e32 v0, 3, v72
	v_fma_f64 v[92:93], s[2:3], v[106:107], v[20:21]
	v_fmac_f64_e32 v[20:21], s[12:13], v[106:107]
	v_fma_f64 v[94:95], s[12:13], v[80:81], v[22:23]
	v_fmac_f64_e32 v[22:23], s[2:3], v[80:81]
	v_lshl_add_u64 v[116:117], v[110:111], 0, s[14:15]
	v_lshlrev_b32_e32 v0, 4, v0
	v_fmac_f64_e32 v[24:25], -0.5, v[96:97]
	v_fmac_f64_e32 v[26:27], -0.5, v[88:89]
	s_mov_b64 s[14:15], 0x1b9
	ds_write_b128 v0, v[40:43]
	ds_write_b128 v0, v[92:95] offset:16
	scratch_store_dword off, v0, off offset:376 ; 4-byte Folded Spill
	ds_write_b128 v0, v[20:23] offset:32
	v_mul_u32_u24_e32 v0, 3, v116
	v_fma_f64 v[80:81], s[2:3], v[86:87], v[24:25]
	v_fmac_f64_e32 v[24:25], s[12:13], v[86:87]
	v_fma_f64 v[82:83], s[12:13], v[70:71], v[26:27]
	v_fmac_f64_e32 v[26:27], s[2:3], v[70:71]
	v_lshl_add_u64 v[124:125], v[110:111], 0, s[14:15]
	v_lshlrev_b32_e32 v0, 4, v0
	v_fmac_f64_e32 v[28:29], -0.5, v[98:99]
	s_mov_b64 s[14:15], 0x1f8
	v_fmac_f64_e32 v[30:31], -0.5, v[78:79]
	ds_write_b128 v0, v[36:39]
	ds_write_b128 v0, v[80:83] offset:16
	scratch_store_dword off, v0, off offset:260 ; 4-byte Folded Spill
	ds_write_b128 v0, v[24:27] offset:32
	v_mul_u32_u24_e32 v0, 3, v124
	v_fma_f64 v[86:87], s[2:3], v[90:91], v[28:29]
	v_fmac_f64_e32 v[28:29], s[12:13], v[90:91]
	v_lshl_add_u64 v[132:133], v[110:111], 0, s[14:15]
	v_fma_f64 v[88:89], s[12:13], v[68:69], v[30:31]
	v_fmac_f64_e32 v[30:31], s[2:3], v[68:69]
	v_lshlrev_b32_e32 v0, 4, v0
	v_fmac_f64_e32 v[64:65], -0.5, v[156:157]
	v_fmac_f64_e32 v[66:67], -0.5, v[160:161]
	ds_write_b128 v0, v[32:35]
	ds_write_b128 v0, v[86:89] offset:16
	scratch_store_dword off, v0, off offset:256 ; 4-byte Folded Spill
	ds_write_b128 v0, v[28:31] offset:32
	v_mul_u32_u24_e32 v0, 3, v132
	v_fma_f64 v[68:69], s[2:3], v[158:159], v[64:65]
	v_fmac_f64_e32 v[64:65], s[12:13], v[158:159]
	v_fma_f64 v[70:71], s[12:13], v[162:163], v[66:67]
	v_fmac_f64_e32 v[66:67], s[2:3], v[162:163]
	v_lshlrev_b32_e32 v0, 4, v0
	s_movk_i32 s14, 0xab
	ds_write_b128 v0, v[144:147]
	ds_write_b128 v0, v[68:71] offset:16
	scratch_store_dword off, v0, off offset:252 ; 4-byte Folded Spill
	ds_write_b128 v0, v[64:67] offset:32
	v_mul_lo_u16_sdwa v0, v110, s14 dst_sel:DWORD dst_unused:UNUSED_PAD src0_sel:BYTE_0 src1_sel:DWORD
	v_lshrrev_b16_e32 v112, 9, v0
	v_mul_lo_u16_e32 v0, 3, v112
	v_sub_u16_e32 v0, v110, v0
	v_and_b32_e32 v113, 0xff, v0
	v_lshlrev_b32_e32 v0, 5, v113
	s_waitcnt lgkmcnt(0)
	; wave barrier
	s_waitcnt lgkmcnt(0)
	global_load_dwordx4 v[44:47], v0, s[10:11] offset:16
	global_load_dwordx4 v[48:51], v0, s[10:11]
	v_mul_lo_u16_sdwa v0, v76, s14 dst_sel:DWORD dst_unused:UNUSED_PAD src0_sel:BYTE_0 src1_sel:DWORD
	v_lshrrev_b16_e32 v73, 9, v0
	v_mul_lo_u16_e32 v0, 3, v73
	v_sub_u16_e32 v0, v76, v0
	v_and_b32_e32 v75, 0xff, v0
	v_lshlrev_b32_e32 v0, 5, v75
	global_load_dwordx4 v[52:55], v0, s[10:11] offset:16
	global_load_dwordx4 v[56:59], v0, s[10:11]
	v_mul_lo_u16_sdwa v0, v84, s14 dst_sel:DWORD dst_unused:UNUSED_PAD src0_sel:BYTE_0 src1_sel:DWORD
	v_lshrrev_b16_e32 v85, 9, v0
	v_mul_lo_u16_e32 v0, 3, v85
	v_sub_u16_e32 v0, v84, v0
	v_and_b32_e32 v96, 0xff, v0
	v_lshlrev_b32_e32 v0, 5, v96
	;; [unrolled: 8-line block ×3, first 2 shown]
	s_mov_b32 s14, 0xaaab
	global_load_dwordx4 v[104:107], v0, s[10:11] offset:16
	global_load_dwordx4 v[118:121], v0, s[10:11]
	v_mul_u32_u24_sdwa v0, v74, s14 dst_sel:DWORD dst_unused:UNUSED_PAD src0_sel:WORD_0 src1_sel:DWORD
	v_lshrrev_b32_e32 v99, 17, v0
	v_mul_lo_u16_e32 v0, 3, v99
	v_sub_u16_e32 v100, v74, v0
	v_lshlrev_b16_e32 v0, 1, v100
	v_lshlrev_b32_e32 v0, 4, v0
	global_load_dwordx4 v[134:137], v0, s[10:11]
	global_load_dwordx4 v[126:129], v0, s[10:11] offset:16
	v_mul_u32_u24_sdwa v0, v72, s14 dst_sel:DWORD dst_unused:UNUSED_PAD src0_sel:WORD_0 src1_sel:DWORD
	v_lshrrev_b32_e32 v101, 17, v0
	v_mul_lo_u16_e32 v0, 3, v101
	v_sub_u16_e32 v102, v72, v0
	v_lshlrev_b16_e32 v0, 1, v102
	v_lshlrev_b32_e32 v42, 4, v0
	global_load_dwordx4 v[138:141], v42, s[10:11]
	ds_read_b128 v[0:3], v108 offset:9072
	ds_read_b128 v[4:7], v108 offset:18144
	;; [unrolled: 1-line block ×10, first 2 shown]
	v_cmp_gt_u16_e32 vcc, 18, v110
	s_waitcnt vmcnt(10) lgkmcnt(8)
	v_mul_f64 v[94:95], v[4:5], v[46:47]
	s_waitcnt vmcnt(9)
	v_mul_f64 v[40:41], v[2:3], v[50:51]
	v_fma_f64 v[88:89], v[0:1], v[48:49], -v[40:41]
	v_mul_f64 v[90:91], v[0:1], v[50:51]
	v_mul_f64 v[0:1], v[6:7], v[46:47]
	v_fma_f64 v[92:93], v[4:5], v[44:45], -v[0:1]
	v_fmac_f64_e32 v[94:95], v[6:7], v[44:45]
	s_waitcnt vmcnt(8) lgkmcnt(7)
	v_mul_f64 v[86:87], v[8:9], v[54:55]
	s_waitcnt vmcnt(7) lgkmcnt(6)
	v_mul_f64 v[0:1], v[14:15], v[58:59]
	v_fma_f64 v[78:79], v[12:13], v[56:57], -v[0:1]
	v_mul_f64 v[0:1], v[10:11], v[54:55]
	v_fma_f64 v[82:83], v[8:9], v[52:53], -v[0:1]
	global_load_dwordx4 v[6:9], v42, s[10:11] offset:16
	v_accvgpr_write_b32 a24, v56
	v_mul_f64 v[80:81], v[12:13], v[58:59]
	s_waitcnt vmcnt(6) lgkmcnt(5)
	v_mul_f64 v[0:1], v[18:19], v[66:67]
	v_accvgpr_write_b32 a25, v57
	v_accvgpr_write_b32 a26, v58
	;; [unrolled: 1-line block ×3, first 2 shown]
	v_fma_f64 v[58:59], v[16:17], v[64:65], -v[0:1]
	v_mul_f64 v[62:63], v[16:17], v[66:67]
	v_accvgpr_write_b32 a48, v64
	s_waitcnt lgkmcnt(4)
	v_mul_f64 v[0:1], v[22:23], v[70:71]
	v_accvgpr_write_b32 a32, v44
	v_accvgpr_write_b32 a49, v65
	;; [unrolled: 1-line block ×4, first 2 shown]
	v_fmac_f64_e32 v[62:63], v[18:19], v[64:65]
	v_fma_f64 v[64:65], v[20:21], v[68:69], -v[0:1]
	s_waitcnt vmcnt(4) lgkmcnt(2)
	v_mul_f64 v[0:1], v[30:31], v[120:121]
	v_accvgpr_write_b32 a28, v48
	v_accvgpr_write_b32 a33, v45
	;; [unrolled: 1-line block ×4, first 2 shown]
	v_fma_f64 v[44:45], v[28:29], v[118:119], -v[0:1]
	v_mul_f64 v[0:1], v[26:27], v[106:107]
	v_accvgpr_write_b32 a29, v49
	v_accvgpr_write_b32 a30, v50
	;; [unrolled: 1-line block ×3, first 2 shown]
	v_fmac_f64_e32 v[90:91], v[2:3], v[48:49]
	v_fma_f64 v[48:49], v[24:25], v[104:105], -v[0:1]
	s_waitcnt vmcnt(3) lgkmcnt(1)
	v_mul_f64 v[0:1], v[34:35], v[136:137]
	v_mul_f64 v[66:67], v[20:21], v[70:71]
	v_fma_f64 v[20:21], v[32:33], v[134:135], -v[0:1]
	ds_read_b128 v[0:3], v108 offset:14112
	s_waitcnt vmcnt(2) lgkmcnt(1)
	v_mul_f64 v[4:5], v[38:39], v[128:129]
	v_mul_f64 v[46:47], v[28:29], v[120:121]
	v_fma_f64 v[28:29], v[36:37], v[126:127], -v[4:5]
	v_accvgpr_write_b32 a20, v68
	s_waitcnt vmcnt(1) lgkmcnt(0)
	v_mul_f64 v[4:5], v[2:3], v[140:141]
	v_mul_f64 v[18:19], v[0:1], v[140:141]
	v_fma_f64 v[16:17], v[0:1], v[138:139], -v[4:5]
	v_fmac_f64_e32 v[18:19], v[2:3], v[138:139]
	ds_read_b128 v[0:3], v108 offset:23184
	v_accvgpr_write_b32 a21, v69
	v_accvgpr_write_b32 a22, v70
	;; [unrolled: 1-line block ×3, first 2 shown]
	v_fmac_f64_e32 v[66:67], v[22:23], v[68:69]
	v_accvgpr_write_b32 a16, v104
	v_mul_f64 v[50:51], v[24:25], v[106:107]
	v_accvgpr_write_b32 a17, v105
	v_accvgpr_write_b32 a18, v106
	;; [unrolled: 1-line block ×3, first 2 shown]
	v_fmac_f64_e32 v[86:87], v[10:11], v[52:53]
	v_accvgpr_write_b32 a57, v55
	v_accvgpr_write_b32 a56, v54
	;; [unrolled: 1-line block ×4, first 2 shown]
	v_fmac_f64_e32 v[80:81], v[14:15], v[56:57]
	v_fmac_f64_e32 v[50:51], v[26:27], v[104:105]
	v_mul_f64 v[24:25], v[32:33], v[136:137]
	v_fmac_f64_e32 v[24:25], v[34:35], v[134:135]
	v_mul_f64 v[34:35], v[36:37], v[128:129]
	v_fmac_f64_e32 v[34:35], v[38:39], v[126:127]
	v_fmac_f64_e32 v[46:47], v[30:31], v[118:119]
	v_accvgpr_write_b32 a12, v118
	v_accvgpr_write_b32 a62, v134
	;; [unrolled: 1-line block ×16, first 2 shown]
	v_add_f64 v[122:123], v[90:91], -v[94:95]
	s_waitcnt vmcnt(0) lgkmcnt(0)
	v_mul_f64 v[4:5], v[2:3], v[8:9]
	v_fma_f64 v[68:69], v[0:1], v[6:7], -v[4:5]
	v_mul_f64 v[70:71], v[0:1], v[8:9]
	v_mul_u32_u24_sdwa v0, v116, s14 dst_sel:DWORD dst_unused:UNUSED_PAD src0_sel:WORD_0 src1_sel:DWORD
	v_lshrrev_b32_e32 v107, 17, v0
	v_mul_lo_u16_e32 v0, 3, v107
	v_sub_u16_e32 v109, v116, v0
	v_accvgpr_write_b32 a4, v6
	v_lshlrev_b16_e32 v0, 1, v109
	v_accvgpr_write_b32 a5, v7
	v_accvgpr_write_b32 a6, v8
	;; [unrolled: 1-line block ×3, first 2 shown]
	v_fmac_f64_e32 v[70:71], v[2:3], v[6:7]
	v_lshlrev_b32_e32 v6, 4, v0
	global_load_dwordx4 v[8:11], v6, s[10:11]
	ds_read_b128 v[0:3], v108 offset:15120
	s_waitcnt vmcnt(0) lgkmcnt(0)
	v_mul_f64 v[4:5], v[2:3], v[10:11]
	v_mul_f64 v[54:55], v[0:1], v[10:11]
	v_accvgpr_write_b32 a81, v11
	v_fma_f64 v[52:53], v[0:1], v[8:9], -v[4:5]
	v_accvgpr_write_b32 a80, v10
	v_accvgpr_write_b32 a79, v9
	;; [unrolled: 1-line block ×3, first 2 shown]
	v_fmac_f64_e32 v[54:55], v[2:3], v[8:9]
	global_load_dwordx4 v[6:9], v6, s[10:11] offset:16
	ds_read_b128 v[0:3], v108 offset:24192
	s_waitcnt vmcnt(0) lgkmcnt(0)
	v_mul_f64 v[4:5], v[2:3], v[8:9]
	v_fma_f64 v[56:57], v[0:1], v[6:7], -v[4:5]
	v_mul_f64 v[60:61], v[0:1], v[8:9]
	v_mul_u32_u24_sdwa v0, v124, s14 dst_sel:DWORD dst_unused:UNUSED_PAD src0_sel:WORD_0 src1_sel:DWORD
	v_lshrrev_b32_e32 v103, 17, v0
	v_mul_lo_u16_e32 v0, 3, v103
	v_sub_u16_e32 v105, v124, v0
	v_accvgpr_write_b32 a69, v9
	v_lshlrev_b16_e32 v0, 1, v105
	v_accvgpr_write_b32 a68, v8
	v_accvgpr_write_b32 a67, v7
	;; [unrolled: 1-line block ×3, first 2 shown]
	v_fmac_f64_e32 v[60:61], v[2:3], v[6:7]
	v_lshlrev_b32_e32 v6, 4, v0
	global_load_dwordx4 v[8:11], v6, s[10:11]
	ds_read_b128 v[0:3], v108 offset:16128
	s_waitcnt vmcnt(0) lgkmcnt(0)
	v_mul_f64 v[4:5], v[2:3], v[10:11]
	v_mul_f64 v[26:27], v[0:1], v[10:11]
	v_accvgpr_write_b32 a77, v11
	v_fma_f64 v[22:23], v[0:1], v[8:9], -v[4:5]
	v_accvgpr_write_b32 a76, v10
	v_accvgpr_write_b32 a75, v9
	;; [unrolled: 1-line block ×3, first 2 shown]
	v_fmac_f64_e32 v[26:27], v[2:3], v[8:9]
	global_load_dwordx4 v[6:9], v6, s[10:11] offset:16
	ds_read_b128 v[0:3], v108 offset:25200
	s_waitcnt vmcnt(0) lgkmcnt(0)
	v_mul_f64 v[4:5], v[2:3], v[8:9]
	v_fma_f64 v[32:33], v[0:1], v[6:7], -v[4:5]
	v_mul_f64 v[38:39], v[0:1], v[8:9]
	v_mul_u32_u24_sdwa v0, v132, s14 dst_sel:DWORD dst_unused:UNUSED_PAD src0_sel:WORD_0 src1_sel:DWORD
	v_lshrrev_b32_e32 v104, 17, v0
	v_mul_lo_u16_e32 v0, 3, v104
	v_sub_u16_e32 v106, v132, v0
	v_accvgpr_write_b32 a73, v9
	v_lshlrev_b16_e32 v0, 1, v106
	v_accvgpr_write_b32 a72, v8
	v_accvgpr_write_b32 a71, v7
	;; [unrolled: 1-line block ×3, first 2 shown]
	v_fmac_f64_e32 v[38:39], v[2:3], v[6:7]
	v_lshlrev_b32_e32 v6, 4, v0
	global_load_dwordx4 v[8:11], v6, s[10:11]
	ds_read_b128 v[0:3], v108 offset:17136
	s_mov_b32 s14, 0xe38f
	s_waitcnt vmcnt(0) lgkmcnt(0)
	v_mul_f64 v[4:5], v[2:3], v[10:11]
	v_mul_f64 v[36:37], v[0:1], v[10:11]
	v_accvgpr_write_b32 a93, v11
	v_fma_f64 v[30:31], v[0:1], v[8:9], -v[4:5]
	v_accvgpr_write_b32 a92, v10
	v_accvgpr_write_b32 a91, v9
	;; [unrolled: 1-line block ×3, first 2 shown]
	v_fmac_f64_e32 v[36:37], v[2:3], v[8:9]
	global_load_dwordx4 v[6:9], v6, s[10:11] offset:16
	ds_read_b128 v[0:3], v108 offset:26208
	s_waitcnt vmcnt(0) lgkmcnt(0)
	v_mul_f64 v[4:5], v[2:3], v[8:9]
	v_mul_f64 v[42:43], v[0:1], v[8:9]
	v_fma_f64 v[40:41], v[0:1], v[6:7], -v[4:5]
	v_fmac_f64_e32 v[42:43], v[2:3], v[6:7]
	ds_read_b128 v[0:3], v108
	v_accvgpr_write_b32 a85, v9
	v_accvgpr_write_b32 a84, v8
	;; [unrolled: 1-line block ×4, first 2 shown]
	s_waitcnt lgkmcnt(0)
	v_add_f64 v[4:5], v[0:1], v[88:89]
	v_add_f64 v[6:7], v[2:3], v[90:91]
	v_mul_u32_u24_e32 v8, 9, v112
	v_add_f64 v[4:5], v[4:5], v[92:93]
	v_add_f64 v[6:7], v[6:7], v[94:95]
	v_add_lshl_u32 v117, v8, v113, 4
	ds_read_b128 v[8:11], v108 offset:8064
	ds_read_b128 v[112:115], v108 offset:1008
	;; [unrolled: 1-line block ×8, first 2 shown]
	s_waitcnt lgkmcnt(0)
	; wave barrier
	s_waitcnt lgkmcnt(0)
	ds_write_b128 v117, v[4:7]
	v_add_f64 v[4:5], v[88:89], v[92:93]
	v_fmac_f64_e32 v[0:1], -0.5, v[4:5]
	v_add_f64 v[4:5], v[90:91], v[94:95]
	v_fmac_f64_e32 v[2:3], -0.5, v[4:5]
	v_add_f64 v[88:89], v[88:89], -v[92:93]
	v_fma_f64 v[4:5], s[2:3], v[122:123], v[0:1]
	v_fma_f64 v[6:7], s[12:13], v[88:89], v[2:3]
	v_fmac_f64_e32 v[0:1], s[12:13], v[122:123]
	v_fmac_f64_e32 v[2:3], s[2:3], v[88:89]
	ds_write_b128 v117, v[4:7] offset:48
	ds_write_b128 v117, v[0:3] offset:96
	v_add_f64 v[0:1], v[112:113], v[78:79]
	v_add_f64 v[2:3], v[114:115], v[80:81]
	v_mul_u32_u24_e32 v4, 9, v73
	v_add_f64 v[0:1], v[0:1], v[82:83]
	v_add_f64 v[2:3], v[2:3], v[86:87]
	v_add_lshl_u32 v73, v4, v75, 4
	ds_write_b128 v73, v[0:3]
	v_add_f64 v[0:1], v[78:79], v[82:83]
	v_fmac_f64_e32 v[112:113], -0.5, v[0:1]
	v_add_f64 v[0:1], v[80:81], v[86:87]
	v_add_f64 v[4:5], v[80:81], -v[86:87]
	v_fmac_f64_e32 v[114:115], -0.5, v[0:1]
	v_add_f64 v[6:7], v[78:79], -v[82:83]
	v_fma_f64 v[0:1], s[2:3], v[4:5], v[112:113]
	v_fma_f64 v[2:3], s[12:13], v[6:7], v[114:115]
	ds_write_b128 v73, v[0:3] offset:48
	v_fmac_f64_e32 v[112:113], s[12:13], v[4:5]
	v_fmac_f64_e32 v[114:115], s[2:3], v[6:7]
	v_add_f64 v[0:1], v[118:119], v[58:59]
	v_add_f64 v[2:3], v[120:121], v[62:63]
	v_mul_u32_u24_e32 v4, 9, v85
	scratch_store_dword off, v73, off offset:248 ; 4-byte Folded Spill
	ds_write_b128 v73, v[112:115] offset:96
	v_add_f64 v[0:1], v[0:1], v[64:65]
	v_add_f64 v[2:3], v[2:3], v[66:67]
	v_add_lshl_u32 v73, v4, v96, 4
	ds_write_b128 v73, v[0:3]
	v_add_f64 v[0:1], v[58:59], v[64:65]
	v_fmac_f64_e32 v[118:119], -0.5, v[0:1]
	v_add_f64 v[0:1], v[62:63], v[66:67]
	v_add_f64 v[4:5], v[62:63], -v[66:67]
	v_fmac_f64_e32 v[120:121], -0.5, v[0:1]
	v_add_f64 v[6:7], v[58:59], -v[64:65]
	v_fma_f64 v[0:1], s[2:3], v[4:5], v[118:119]
	v_fma_f64 v[2:3], s[12:13], v[6:7], v[120:121]
	ds_write_b128 v73, v[0:3] offset:48
	v_fmac_f64_e32 v[118:119], s[12:13], v[4:5]
	v_add_f64 v[0:1], v[126:127], v[44:45]
	v_add_f64 v[2:3], v[128:129], v[46:47]
	v_mul_u32_u24_e32 v4, 9, v97
	v_fmac_f64_e32 v[120:121], s[2:3], v[6:7]
	v_add_f64 v[0:1], v[0:1], v[48:49]
	v_add_f64 v[2:3], v[2:3], v[50:51]
	v_add_lshl_u32 v58, v4, v98, 4
	ds_write_b128 v73, v[118:121] offset:96
	ds_write_b128 v58, v[0:3]
	v_add_f64 v[0:1], v[44:45], v[48:49]
	v_fmac_f64_e32 v[126:127], -0.5, v[0:1]
	v_add_f64 v[0:1], v[46:47], v[50:51]
	v_add_f64 v[4:5], v[46:47], -v[50:51]
	v_fmac_f64_e32 v[128:129], -0.5, v[0:1]
	v_add_f64 v[6:7], v[44:45], -v[48:49]
	v_fma_f64 v[0:1], s[2:3], v[4:5], v[126:127]
	v_fma_f64 v[2:3], s[12:13], v[6:7], v[128:129]
	ds_write_b128 v58, v[0:3] offset:48
	v_fmac_f64_e32 v[126:127], s[12:13], v[4:5]
	v_add_f64 v[0:1], v[134:135], v[20:21]
	v_add_f64 v[2:3], v[136:137], v[24:25]
	v_mad_legacy_u16 v4, v99, 9, v100
	v_fmac_f64_e32 v[128:129], s[2:3], v[6:7]
	v_add_f64 v[0:1], v[0:1], v[28:29]
	v_add_f64 v[2:3], v[2:3], v[34:35]
	v_lshlrev_b32_e32 v44, 4, v4
	ds_write_b128 v58, v[126:129] offset:96
	ds_write_b128 v44, v[0:3]
	v_add_f64 v[0:1], v[20:21], v[28:29]
	v_fmac_f64_e32 v[134:135], -0.5, v[0:1]
	v_add_f64 v[0:1], v[24:25], v[34:35]
	v_add_f64 v[4:5], v[24:25], -v[34:35]
	v_fmac_f64_e32 v[136:137], -0.5, v[0:1]
	v_add_f64 v[6:7], v[20:21], -v[28:29]
	v_fma_f64 v[0:1], s[2:3], v[4:5], v[134:135]
	v_fma_f64 v[2:3], s[12:13], v[6:7], v[136:137]
	ds_write_b128 v44, v[0:3] offset:48
	v_fmac_f64_e32 v[134:135], s[12:13], v[4:5]
	v_add_f64 v[0:1], v[138:139], v[16:17]
	v_add_f64 v[2:3], v[140:141], v[18:19]
	v_mad_legacy_u16 v4, v101, 9, v102
	v_fmac_f64_e32 v[136:137], s[2:3], v[6:7]
	v_add_f64 v[0:1], v[0:1], v[68:69]
	v_add_f64 v[2:3], v[2:3], v[70:71]
	v_lshlrev_b32_e32 v20, 4, v4
	;; [unrolled: 19-line block ×3, first 2 shown]
	ds_write_b128 v20, v[138:141] offset:96
	ds_write_b128 v16, v[0:3]
	v_add_f64 v[0:1], v[52:53], v[56:57]
	v_fmac_f64_e32 v[142:143], -0.5, v[0:1]
	v_add_f64 v[0:1], v[54:55], v[60:61]
	v_add_f64 v[4:5], v[54:55], -v[60:61]
	v_fmac_f64_e32 v[144:145], -0.5, v[0:1]
	v_add_f64 v[6:7], v[52:53], -v[56:57]
	v_fma_f64 v[0:1], s[2:3], v[4:5], v[142:143]
	v_fma_f64 v[2:3], s[12:13], v[6:7], v[144:145]
	ds_write_b128 v16, v[0:3] offset:48
	v_add_f64 v[0:1], v[22:23], v[32:33]
	v_fmac_f64_e32 v[142:143], s[12:13], v[4:5]
	v_add_f64 v[2:3], v[12:13], v[22:23]
	v_fmac_f64_e32 v[12:13], -0.5, v[0:1]
	v_add_f64 v[4:5], v[26:27], -v[38:39]
	v_fma_f64 v[0:1], s[2:3], v[4:5], v[12:13]
	v_fmac_f64_e32 v[12:13], s[12:13], v[4:5]
	v_add_f64 v[4:5], v[2:3], v[32:33]
	v_add_f64 v[2:3], v[14:15], v[26:27]
	v_fmac_f64_e32 v[144:145], s[2:3], v[6:7]
	v_add_f64 v[6:7], v[2:3], v[38:39]
	v_add_f64 v[2:3], v[26:27], v[38:39]
	scratch_store_dword off, v16, off offset:656 ; 4-byte Folded Spill
	ds_write_b128 v16, v[142:145] offset:96
	v_fmac_f64_e32 v[14:15], -0.5, v[2:3]
	v_add_f64 v[16:17], v[22:23], -v[32:33]
	v_fma_f64 v[2:3], s[12:13], v[16:17], v[14:15]
	v_fmac_f64_e32 v[14:15], s[2:3], v[16:17]
	v_add_f64 v[16:17], v[30:31], v[40:41]
	scratch_store_dword off, v20, off offset:180 ; 4-byte Folded Spill
	v_add_f64 v[18:19], v[8:9], v[30:31]
	v_fmac_f64_e32 v[8:9], -0.5, v[16:17]
	v_add_f64 v[20:21], v[36:37], -v[42:43]
	v_fma_f64 v[16:17], s[2:3], v[20:21], v[8:9]
	v_fmac_f64_e32 v[8:9], s[12:13], v[20:21]
	v_add_f64 v[20:21], v[18:19], v[40:41]
	v_add_f64 v[18:19], v[10:11], v[36:37]
	;; [unrolled: 1-line block ×4, first 2 shown]
	v_fmac_f64_e32 v[10:11], -0.5, v[18:19]
	v_add_f64 v[24:25], v[30:31], -v[40:41]
	v_fma_f64 v[18:19], s[12:13], v[24:25], v[10:11]
	v_fmac_f64_e32 v[10:11], s[2:3], v[24:25]
	v_mad_legacy_u16 v24, v103, 9, v105
	v_lshlrev_b32_e32 v24, 4, v24
	scratch_store_dword off, v117, off offset:648 ; 4-byte Folded Spill
	scratch_store_dword off, v73, off offset:244 ; 4-byte Folded Spill
	;; [unrolled: 1-line block ×4, first 2 shown]
	ds_write_b128 v24, v[4:7]
	ds_write_b128 v24, v[0:3] offset:48
	v_mad_legacy_u16 v0, v104, 9, v106
	v_lshlrev_b32_e32 v0, 4, v0
	scratch_store_dword off, v24, off offset:60 ; 4-byte Folded Spill
	ds_write_b128 v24, v[12:15] offset:96
	ds_write_b128 v0, v[20:23]
	ds_write_b128 v0, v[16:19] offset:48
	ds_write_b128 v0, v[8:11] offset:96
	v_mov_b32_e32 v10, 57
	scratch_store_dword off, v0, off offset:652 ; 4-byte Folded Spill
	v_mul_lo_u16_sdwa v0, v110, v10 dst_sel:DWORD dst_unused:UNUSED_PAD src0_sel:BYTE_0 src1_sel:DWORD
	v_lshrrev_b16_e32 v11, 9, v0
	v_mul_lo_u16_e32 v0, 9, v11
	v_sub_u16_e32 v0, v110, v0
	v_and_b32_e32 v105, 0xff, v0
	v_lshlrev_b32_e32 v0, 5, v105
	s_waitcnt lgkmcnt(0)
	; wave barrier
	s_waitcnt lgkmcnt(0)
	global_load_dwordx4 v[16:19], v0, s[10:11] offset:96
	global_load_dwordx4 v[12:15], v0, s[10:11] offset:112
	ds_read_b128 v[0:3], v108 offset:9072
	ds_read_b128 v[4:7], v108 offset:18144
	s_waitcnt vmcnt(1) lgkmcnt(1)
	v_mul_f64 v[8:9], v[2:3], v[18:19]
	v_fma_f64 v[82:83], v[0:1], v[16:17], -v[8:9]
	v_mul_f64 v[86:87], v[0:1], v[18:19]
	s_waitcnt vmcnt(0) lgkmcnt(0)
	v_mul_f64 v[0:1], v[6:7], v[14:15]
	v_fma_f64 v[88:89], v[4:5], v[12:13], -v[0:1]
	v_mul_lo_u16_sdwa v0, v76, v10 dst_sel:DWORD dst_unused:UNUSED_PAD src0_sel:BYTE_0 src1_sel:DWORD
	v_lshrrev_b16_e32 v103, 9, v0
	v_mul_lo_u16_e32 v0, 9, v103
	v_sub_u16_e32 v0, v76, v0
	v_mul_f64 v[90:91], v[4:5], v[14:15]
	v_and_b32_e32 v104, 0xff, v0
	v_accvgpr_write_b32 a193, v15
	v_fmac_f64_e32 v[90:91], v[6:7], v[12:13]
	v_lshlrev_b32_e32 v6, 5, v104
	v_accvgpr_write_b32 a192, v14
	v_accvgpr_write_b32 a191, v13
	;; [unrolled: 1-line block ×3, first 2 shown]
	global_load_dwordx4 v[12:15], v6, s[10:11] offset:96
	v_fmac_f64_e32 v[86:87], v[2:3], v[16:17]
	global_load_dwordx4 v[6:9], v6, s[10:11] offset:112
	ds_read_b128 v[0:3], v108 offset:10080
	v_accvgpr_write_b32 a205, v19
	v_accvgpr_write_b32 a204, v18
	;; [unrolled: 1-line block ×4, first 2 shown]
	v_add_f64 v[106:107], v[86:87], -v[90:91]
	s_waitcnt vmcnt(1) lgkmcnt(0)
	v_mul_f64 v[4:5], v[2:3], v[14:15]
	v_mul_f64 v[70:71], v[0:1], v[14:15]
	v_fma_f64 v[68:69], v[0:1], v[12:13], -v[4:5]
	v_fmac_f64_e32 v[70:71], v[2:3], v[12:13]
	ds_read_b128 v[0:3], v108 offset:19152
	s_waitcnt vmcnt(0)
	v_accvgpr_write_b32 a197, v9
	v_accvgpr_write_b32 a201, v15
	;; [unrolled: 1-line block ×4, first 2 shown]
	s_waitcnt lgkmcnt(0)
	v_mul_f64 v[4:5], v[2:3], v[8:9]
	v_fma_f64 v[78:79], v[0:1], v[6:7], -v[4:5]
	v_mul_f64 v[80:81], v[0:1], v[8:9]
	v_mul_lo_u16_sdwa v0, v84, v10 dst_sel:DWORD dst_unused:UNUSED_PAD src0_sel:BYTE_0 src1_sel:DWORD
	v_lshrrev_b16_e32 v101, 9, v0
	v_mul_lo_u16_e32 v0, 9, v101
	v_sub_u16_e32 v0, v84, v0
	v_and_b32_e32 v102, 0xff, v0
	v_accvgpr_write_b32 a194, v6
	v_fmac_f64_e32 v[80:81], v[2:3], v[6:7]
	v_lshlrev_b32_e32 v6, 5, v102
	v_accvgpr_write_b32 a200, v14
	v_accvgpr_write_b32 a199, v13
	;; [unrolled: 1-line block ×3, first 2 shown]
	global_load_dwordx4 v[12:15], v6, s[10:11] offset:96
	ds_read_b128 v[0:3], v108 offset:11088
	global_load_dwordx4 v[6:9], v6, s[10:11] offset:112
	s_waitcnt vmcnt(1) lgkmcnt(0)
	v_mul_f64 v[4:5], v[2:3], v[14:15]
	v_mul_f64 v[62:63], v[0:1], v[14:15]
	v_fma_f64 v[60:61], v[0:1], v[12:13], -v[4:5]
	v_fmac_f64_e32 v[62:63], v[2:3], v[12:13]
	ds_read_b128 v[0:3], v108 offset:20160
	s_waitcnt vmcnt(0)
	v_accvgpr_write_b32 a209, v9
	v_accvgpr_write_b32 a221, v15
	;; [unrolled: 1-line block ×4, first 2 shown]
	s_waitcnt lgkmcnt(0)
	v_mul_f64 v[4:5], v[2:3], v[8:9]
	v_fma_f64 v[64:65], v[0:1], v[6:7], -v[4:5]
	v_mul_f64 v[66:67], v[0:1], v[8:9]
	v_mul_lo_u16_sdwa v0, v208, v10 dst_sel:DWORD dst_unused:UNUSED_PAD src0_sel:BYTE_0 src1_sel:DWORD
	v_lshrrev_b16_e32 v99, 9, v0
	v_mul_lo_u16_e32 v0, 9, v99
	v_sub_u16_e32 v0, v208, v0
	v_and_b32_e32 v100, 0xff, v0
	v_accvgpr_write_b32 a206, v6
	v_fmac_f64_e32 v[66:67], v[2:3], v[6:7]
	v_lshlrev_b32_e32 v6, 5, v100
	v_accvgpr_write_b32 a220, v14
	v_accvgpr_write_b32 a219, v13
	;; [unrolled: 1-line block ×3, first 2 shown]
	global_load_dwordx4 v[12:15], v6, s[10:11] offset:96
	ds_read_b128 v[0:3], v108 offset:12096
	global_load_dwordx4 v[6:9], v6, s[10:11] offset:112
	s_waitcnt vmcnt(1) lgkmcnt(0)
	v_mul_f64 v[4:5], v[2:3], v[14:15]
	v_mul_f64 v[54:55], v[0:1], v[14:15]
	v_fma_f64 v[52:53], v[0:1], v[12:13], -v[4:5]
	v_fmac_f64_e32 v[54:55], v[2:3], v[12:13]
	ds_read_b128 v[0:3], v108 offset:21168
	v_accvgpr_write_b32 a217, v15
	v_accvgpr_write_b32 a216, v14
	v_accvgpr_write_b32 a215, v13
	v_accvgpr_write_b32 a214, v12
	s_waitcnt vmcnt(0) lgkmcnt(0)
	v_mul_f64 v[4:5], v[2:3], v[8:9]
	v_fma_f64 v[56:57], v[0:1], v[6:7], -v[4:5]
	v_mul_f64 v[58:59], v[0:1], v[8:9]
	v_mul_u32_u24_sdwa v0, v74, s14 dst_sel:DWORD dst_unused:UNUSED_PAD src0_sel:WORD_0 src1_sel:DWORD
	v_lshrrev_b32_e32 v97, 19, v0
	v_mul_lo_u16_e32 v0, 9, v97
	v_sub_u16_e32 v98, v74, v0
	v_lshlrev_b16_e32 v0, 5, v98
	v_mov_b32_e32 v1, v181
	v_lshl_add_u64 v[4:5], s[10:11], 0, v[0:1]
	global_load_dwordx4 v[12:15], v[4:5], off offset:96
	v_fmac_f64_e32 v[58:59], v[2:3], v[6:7]
	ds_read_b128 v[0:3], v108 offset:13104
	v_accvgpr_write_b32 a213, v9
	v_accvgpr_write_b32 a212, v8
	v_accvgpr_write_b32 a211, v7
	v_accvgpr_write_b32 a210, v6
	s_waitcnt vmcnt(0) lgkmcnt(0)
	v_mul_f64 v[6:7], v[2:3], v[14:15]
	v_fma_f64 v[44:45], v[0:1], v[12:13], -v[6:7]
	global_load_dwordx4 v[6:9], v[4:5], off offset:112
	v_mul_f64 v[46:47], v[0:1], v[14:15]
	v_fmac_f64_e32 v[46:47], v[2:3], v[12:13]
	ds_read_b128 v[0:3], v108 offset:22176
	v_accvgpr_write_b32 a237, v15
	v_accvgpr_write_b32 a236, v14
	v_accvgpr_write_b32 a235, v13
	v_accvgpr_write_b32 a234, v12
	s_waitcnt vmcnt(0) lgkmcnt(0)
	v_mul_f64 v[4:5], v[2:3], v[8:9]
	v_fma_f64 v[48:49], v[0:1], v[6:7], -v[4:5]
	v_mul_f64 v[50:51], v[0:1], v[8:9]
	v_mul_u32_u24_sdwa v0, v72, s14 dst_sel:DWORD dst_unused:UNUSED_PAD src0_sel:WORD_0 src1_sel:DWORD
	v_lshrrev_b32_e32 v95, 19, v0
	v_mul_lo_u16_e32 v0, 9, v95
	v_sub_u16_e32 v96, v72, v0
	v_lshlrev_b16_e32 v0, 5, v96
	v_mov_b32_e32 v1, v181
	v_lshl_add_u64 v[4:5], s[10:11], 0, v[0:1]
	global_load_dwordx4 v[12:15], v[4:5], off offset:96
	v_fmac_f64_e32 v[50:51], v[2:3], v[6:7]
	ds_read_b128 v[0:3], v108 offset:14112
	v_accvgpr_write_b32 a225, v9
	v_accvgpr_write_b32 a224, v8
	v_accvgpr_write_b32 a223, v7
	v_accvgpr_write_b32 a222, v6
	s_waitcnt vmcnt(0) lgkmcnt(0)
	v_mul_f64 v[6:7], v[2:3], v[14:15]
	v_fma_f64 v[36:37], v[0:1], v[12:13], -v[6:7]
	global_load_dwordx4 v[6:9], v[4:5], off offset:112
	v_mul_f64 v[38:39], v[0:1], v[14:15]
	;; [unrolled: 29-line block ×4, first 2 shown]
	v_fmac_f64_e32 v[22:23], v[2:3], v[12:13]
	ds_read_b128 v[0:3], v108 offset:25200
	v_accvgpr_write_b32 a249, v15
	v_accvgpr_write_b32 a248, v14
	;; [unrolled: 1-line block ×4, first 2 shown]
	s_waitcnt vmcnt(0) lgkmcnt(0)
	v_mul_f64 v[4:5], v[2:3], v[8:9]
	v_fma_f64 v[24:25], v[0:1], v[6:7], -v[4:5]
	v_mul_f64 v[26:27], v[0:1], v[8:9]
	v_mul_u32_u24_sdwa v0, v132, s14 dst_sel:DWORD dst_unused:UNUSED_PAD src0_sel:WORD_0 src1_sel:DWORD
	v_lshrrev_b32_e32 v73, 19, v0
	v_mul_lo_u16_e32 v0, 9, v73
	v_sub_u16_e32 v75, v132, v0
	v_lshlrev_b16_e32 v0, 5, v75
	v_mov_b32_e32 v1, v181
	v_lshl_add_u64 v[4:5], s[10:11], 0, v[0:1]
	global_load_dwordx4 v[16:19], v[4:5], off offset:96
	v_fmac_f64_e32 v[26:27], v[2:3], v[6:7]
	ds_read_b128 v[0:3], v108 offset:17136
	v_accvgpr_write_b32 a245, v9
	v_accvgpr_write_b32 a244, v8
	;; [unrolled: 1-line block ×4, first 2 shown]
	s_movk_i32 s14, 0x2f69
	s_waitcnt vmcnt(0) lgkmcnt(0)
	v_mul_f64 v[6:7], v[2:3], v[18:19]
	v_fma_f64 v[12:13], v[0:1], v[16:17], -v[6:7]
	global_load_dwordx4 v[6:9], v[4:5], off offset:112
	v_mul_f64 v[14:15], v[0:1], v[18:19]
	v_fmac_f64_e32 v[14:15], v[2:3], v[16:17]
	ds_read_b128 v[0:3], v108 offset:26208
	v_accvgpr_write_b32 a0, v16
	v_accvgpr_write_b32 a1, v17
	;; [unrolled: 1-line block ×4, first 2 shown]
	s_waitcnt vmcnt(0) lgkmcnt(0)
	v_mul_f64 v[4:5], v[2:3], v[8:9]
	v_mul_f64 v[18:19], v[0:1], v[8:9]
	v_fma_f64 v[16:17], v[0:1], v[6:7], -v[4:5]
	v_fmac_f64_e32 v[18:19], v[2:3], v[6:7]
	ds_read_b128 v[0:3], v108
	v_accvgpr_write_b32 a115, v9
	v_accvgpr_write_b32 a114, v8
	;; [unrolled: 1-line block ×4, first 2 shown]
	v_mul_lo_u16_e32 v8, 27, v11
	s_waitcnt lgkmcnt(0)
	v_add_f64 v[4:5], v[0:1], v[82:83]
	v_add_f64 v[6:7], v[2:3], v[86:87]
	v_and_b32_e32 v8, 0xff, v8
	v_add_f64 v[4:5], v[4:5], v[88:89]
	v_add_f64 v[6:7], v[6:7], v[90:91]
	v_add_lshl_u32 v105, v8, v105, 4
	ds_read_b128 v[8:11], v108 offset:8064
	ds_read_b128 v[112:115], v108 offset:1008
	;; [unrolled: 1-line block ×8, first 2 shown]
	s_waitcnt lgkmcnt(0)
	; wave barrier
	s_waitcnt lgkmcnt(0)
	ds_write_b128 v105, v[4:7]
	v_add_f64 v[4:5], v[82:83], v[88:89]
	v_fmac_f64_e32 v[0:1], -0.5, v[4:5]
	v_add_f64 v[4:5], v[86:87], v[90:91]
	v_fmac_f64_e32 v[2:3], -0.5, v[4:5]
	v_add_f64 v[82:83], v[82:83], -v[88:89]
	v_fma_f64 v[4:5], s[2:3], v[106:107], v[0:1]
	v_fma_f64 v[6:7], s[12:13], v[82:83], v[2:3]
	v_fmac_f64_e32 v[0:1], s[12:13], v[106:107]
	v_fmac_f64_e32 v[2:3], s[2:3], v[82:83]
	ds_write_b128 v105, v[4:7] offset:144
	ds_write_b128 v105, v[0:3] offset:288
	v_add_f64 v[0:1], v[112:113], v[68:69]
	v_add_f64 v[2:3], v[114:115], v[70:71]
	v_mul_u32_u24_e32 v4, 27, v103
	v_add_f64 v[0:1], v[0:1], v[78:79]
	v_add_f64 v[2:3], v[2:3], v[80:81]
	v_add_lshl_u32 v82, v4, v104, 4
	ds_write_b128 v82, v[0:3]
	v_add_f64 v[0:1], v[68:69], v[78:79]
	v_fmac_f64_e32 v[112:113], -0.5, v[0:1]
	v_add_f64 v[0:1], v[70:71], v[80:81]
	v_add_f64 v[4:5], v[70:71], -v[80:81]
	v_fmac_f64_e32 v[114:115], -0.5, v[0:1]
	v_add_f64 v[6:7], v[68:69], -v[78:79]
	v_fma_f64 v[0:1], s[2:3], v[4:5], v[112:113]
	v_fma_f64 v[2:3], s[12:13], v[6:7], v[114:115]
	ds_write_b128 v82, v[0:3] offset:144
	v_fmac_f64_e32 v[112:113], s[12:13], v[4:5]
	v_add_f64 v[0:1], v[118:119], v[60:61]
	v_add_f64 v[2:3], v[120:121], v[62:63]
	v_mul_u32_u24_e32 v4, 27, v101
	v_fmac_f64_e32 v[114:115], s[2:3], v[6:7]
	v_add_f64 v[0:1], v[0:1], v[64:65]
	v_add_f64 v[2:3], v[2:3], v[66:67]
	v_add_lshl_u32 v68, v4, v102, 4
	ds_write_b128 v82, v[112:115] offset:288
	ds_write_b128 v68, v[0:3]
	v_add_f64 v[0:1], v[60:61], v[64:65]
	v_fmac_f64_e32 v[118:119], -0.5, v[0:1]
	v_add_f64 v[0:1], v[62:63], v[66:67]
	v_add_f64 v[4:5], v[62:63], -v[66:67]
	v_fmac_f64_e32 v[120:121], -0.5, v[0:1]
	v_add_f64 v[6:7], v[60:61], -v[64:65]
	v_fma_f64 v[0:1], s[2:3], v[4:5], v[118:119]
	v_fma_f64 v[2:3], s[12:13], v[6:7], v[120:121]
	ds_write_b128 v68, v[0:3] offset:144
	v_fmac_f64_e32 v[118:119], s[12:13], v[4:5]
	v_add_f64 v[0:1], v[126:127], v[52:53]
	v_add_f64 v[2:3], v[128:129], v[54:55]
	v_mul_u32_u24_e32 v4, 27, v99
	v_fmac_f64_e32 v[120:121], s[2:3], v[6:7]
	v_add_f64 v[0:1], v[0:1], v[56:57]
	v_add_f64 v[2:3], v[2:3], v[58:59]
	v_add_lshl_u32 v60, v4, v100, 4
	ds_write_b128 v68, v[118:121] offset:288
	ds_write_b128 v60, v[0:3]
	v_add_f64 v[0:1], v[52:53], v[56:57]
	v_fmac_f64_e32 v[126:127], -0.5, v[0:1]
	v_add_f64 v[0:1], v[54:55], v[58:59]
	v_add_f64 v[4:5], v[54:55], -v[58:59]
	v_fmac_f64_e32 v[128:129], -0.5, v[0:1]
	v_add_f64 v[6:7], v[52:53], -v[56:57]
	v_fma_f64 v[0:1], s[2:3], v[4:5], v[126:127]
	v_fma_f64 v[2:3], s[12:13], v[6:7], v[128:129]
	ds_write_b128 v60, v[0:3] offset:144
	v_fmac_f64_e32 v[126:127], s[12:13], v[4:5]
	v_add_f64 v[0:1], v[134:135], v[44:45]
	v_add_f64 v[2:3], v[136:137], v[46:47]
	v_mad_legacy_u16 v4, v97, 27, v98
	v_fmac_f64_e32 v[128:129], s[2:3], v[6:7]
	v_add_f64 v[0:1], v[0:1], v[48:49]
	v_add_f64 v[2:3], v[2:3], v[50:51]
	v_lshlrev_b32_e32 v52, 4, v4
	ds_write_b128 v60, v[126:129] offset:288
	ds_write_b128 v52, v[0:3]
	v_add_f64 v[0:1], v[44:45], v[48:49]
	v_fmac_f64_e32 v[134:135], -0.5, v[0:1]
	v_add_f64 v[0:1], v[46:47], v[50:51]
	v_add_f64 v[4:5], v[46:47], -v[50:51]
	v_fmac_f64_e32 v[136:137], -0.5, v[0:1]
	v_add_f64 v[6:7], v[44:45], -v[48:49]
	v_fma_f64 v[0:1], s[2:3], v[4:5], v[134:135]
	v_fma_f64 v[2:3], s[12:13], v[6:7], v[136:137]
	ds_write_b128 v52, v[0:3] offset:144
	v_fmac_f64_e32 v[134:135], s[12:13], v[4:5]
	v_add_f64 v[0:1], v[138:139], v[36:37]
	v_add_f64 v[2:3], v[140:141], v[38:39]
	v_mad_legacy_u16 v4, v95, 27, v96
	v_fmac_f64_e32 v[136:137], s[2:3], v[6:7]
	v_add_f64 v[0:1], v[0:1], v[40:41]
	v_add_f64 v[2:3], v[2:3], v[42:43]
	v_lshlrev_b32_e32 v44, 4, v4
	;; [unrolled: 19-line block ×5, first 2 shown]
	ds_write_b128 v28, v[146:149] offset:288
	ds_write_b128 v20, v[0:3]
	v_add_f64 v[0:1], v[12:13], v[16:17]
	v_fmac_f64_e32 v[8:9], -0.5, v[0:1]
	v_add_f64 v[0:1], v[14:15], v[18:19]
	v_add_f64 v[4:5], v[14:15], -v[18:19]
	v_fmac_f64_e32 v[10:11], -0.5, v[0:1]
	v_add_f64 v[6:7], v[12:13], -v[16:17]
	v_fma_f64 v[0:1], s[2:3], v[4:5], v[8:9]
	v_fma_f64 v[2:3], s[12:13], v[6:7], v[10:11]
	v_fmac_f64_e32 v[10:11], s[2:3], v[6:7]
	v_mov_b32_e32 v6, 19
	ds_write_b128 v20, v[0:3] offset:144
	v_mul_lo_u16_sdwa v0, v110, v6 dst_sel:DWORD dst_unused:UNUSED_PAD src0_sel:BYTE_0 src1_sel:DWORD
	scratch_store_dword off, v105, off offset:200 ; 4-byte Folded Spill
	v_lshrrev_b16_e32 v105, 9, v0
	v_mul_lo_u16_e32 v0, 27, v105
	v_sub_u16_e32 v0, v110, v0
	v_and_b32_e32 v106, 0xff, v0
	v_fmac_f64_e32 v[8:9], s[12:13], v[4:5]
	v_lshlrev_b32_e32 v7, 5, v106
	scratch_store_dword off, v82, off offset:128 ; 4-byte Folded Spill
	scratch_store_dword off, v68, off offset:40 ; 4-byte Folded Spill
	scratch_store_dword off, v60, off       ; 4-byte Folded Spill
	scratch_store_dword off, v52, off offset:24 ; 4-byte Folded Spill
	scratch_store_dword off, v44, off offset:28 ; 4-byte Folded Spill
	;; [unrolled: 1-line block ×5, first 2 shown]
	ds_write_b128 v20, v[8:11] offset:288
	s_waitcnt lgkmcnt(0)
	; wave barrier
	s_waitcnt lgkmcnt(0)
	global_load_dwordx4 v[8:11], v7, s[10:11] offset:384
	ds_read_b128 v[0:3], v108 offset:9072
	s_waitcnt vmcnt(0) lgkmcnt(0)
	v_mul_f64 v[4:5], v[2:3], v[10:11]
	v_mul_f64 v[66:67], v[0:1], v[10:11]
	v_fma_f64 v[62:63], v[0:1], v[8:9], -v[4:5]
	scratch_store_dwordx4 off, v[8:11], off offset:536 ; 16-byte Folded Spill
	v_fmac_f64_e32 v[66:67], v[2:3], v[8:9]
	global_load_dwordx4 v[8:11], v7, s[10:11] offset:400
	ds_read_b128 v[0:3], v108 offset:18144
	s_waitcnt vmcnt(0) lgkmcnt(0)
	v_mul_f64 v[4:5], v[2:3], v[10:11]
	v_fma_f64 v[88:89], v[0:1], v[8:9], -v[4:5]
	v_mul_f64 v[90:91], v[0:1], v[10:11]
	v_mul_lo_u16_sdwa v0, v76, v6 dst_sel:DWORD dst_unused:UNUSED_PAD src0_sel:BYTE_0 src1_sel:DWORD
	v_lshrrev_b16_e32 v103, 9, v0
	v_mul_lo_u16_e32 v0, 27, v103
	v_sub_u16_e32 v0, v76, v0
	v_and_b32_e32 v104, 0xff, v0
	v_lshlrev_b32_e32 v7, 5, v104
	scratch_store_dwordx4 off, v[8:11], off offset:552 ; 16-byte Folded Spill
	v_fmac_f64_e32 v[90:91], v[2:3], v[8:9]
	global_load_dwordx4 v[8:11], v7, s[10:11] offset:384
	ds_read_b128 v[0:3], v108 offset:10080
	s_waitcnt vmcnt(0) lgkmcnt(0)
	v_mul_f64 v[4:5], v[2:3], v[10:11]
	v_mul_f64 v[80:81], v[0:1], v[10:11]
	v_fma_f64 v[78:79], v[0:1], v[8:9], -v[4:5]
	scratch_store_dwordx4 off, v[8:11], off offset:584 ; 16-byte Folded Spill
	v_fmac_f64_e32 v[80:81], v[2:3], v[8:9]
	global_load_dwordx4 v[8:11], v7, s[10:11] offset:400
	ds_read_b128 v[0:3], v108 offset:19152
	s_waitcnt vmcnt(0) lgkmcnt(0)
	v_mul_f64 v[4:5], v[2:3], v[10:11]
	v_fma_f64 v[82:83], v[0:1], v[8:9], -v[4:5]
	v_mul_f64 v[86:87], v[0:1], v[10:11]
	v_mul_lo_u16_sdwa v0, v84, v6 dst_sel:DWORD dst_unused:UNUSED_PAD src0_sel:BYTE_0 src1_sel:DWORD
	v_lshrrev_b16_e32 v101, 9, v0
	v_mul_lo_u16_e32 v0, 27, v101
	v_sub_u16_e32 v0, v84, v0
	v_and_b32_e32 v102, 0xff, v0
	v_lshlrev_b32_e32 v7, 5, v102
	scratch_store_dwordx4 off, v[8:11], off offset:568 ; 16-byte Folded Spill
	v_fmac_f64_e32 v[86:87], v[2:3], v[8:9]
	global_load_dwordx4 v[8:11], v7, s[10:11] offset:384
	ds_read_b128 v[0:3], v108 offset:11088
	s_waitcnt vmcnt(0) lgkmcnt(0)
	v_mul_f64 v[4:5], v[2:3], v[10:11]
	v_mul_f64 v[58:59], v[0:1], v[10:11]
	v_fma_f64 v[56:57], v[0:1], v[8:9], -v[4:5]
	scratch_store_dwordx4 off, v[8:11], off offset:616 ; 16-byte Folded Spill
	v_fmac_f64_e32 v[58:59], v[2:3], v[8:9]
	global_load_dwordx4 v[8:11], v7, s[10:11] offset:400
	ds_read_b128 v[0:3], v108 offset:20160
	s_waitcnt vmcnt(0) lgkmcnt(0)
	v_mul_f64 v[4:5], v[2:3], v[10:11]
	v_fma_f64 v[60:61], v[0:1], v[8:9], -v[4:5]
	v_mul_f64 v[64:65], v[0:1], v[10:11]
	v_mul_lo_u16_sdwa v0, v208, v6 dst_sel:DWORD dst_unused:UNUSED_PAD src0_sel:BYTE_0 src1_sel:DWORD
	v_lshrrev_b16_e32 v99, 9, v0
	v_mul_lo_u16_e32 v0, 27, v99
	v_sub_u16_e32 v0, v208, v0
	v_and_b32_e32 v100, 0xff, v0
	v_lshlrev_b32_e32 v6, 5, v100
	scratch_store_dwordx4 off, v[8:11], off offset:600 ; 16-byte Folded Spill
	v_fmac_f64_e32 v[64:65], v[2:3], v[8:9]
	global_load_dwordx4 v[8:11], v6, s[10:11] offset:384
	ds_read_b128 v[0:3], v108 offset:12096
	s_waitcnt vmcnt(0) lgkmcnt(0)
	v_mul_f64 v[4:5], v[2:3], v[10:11]
	v_mul_f64 v[50:51], v[0:1], v[10:11]
	v_fma_f64 v[46:47], v[0:1], v[8:9], -v[4:5]
	scratch_store_dwordx4 off, v[8:11], off offset:660 ; 16-byte Folded Spill
	v_fmac_f64_e32 v[50:51], v[2:3], v[8:9]
	global_load_dwordx4 v[6:9], v6, s[10:11] offset:400
	ds_read_b128 v[0:3], v108 offset:21168
	s_waitcnt vmcnt(0) lgkmcnt(0)
	v_mul_f64 v[4:5], v[2:3], v[8:9]
	v_fma_f64 v[52:53], v[0:1], v[6:7], -v[4:5]
	v_mul_f64 v[54:55], v[0:1], v[8:9]
	v_mul_u32_u24_sdwa v0, v74, s14 dst_sel:DWORD dst_unused:UNUSED_PAD src0_sel:WORD_0 src1_sel:DWORD
	v_sub_u16_sdwa v1, v74, v0 dst_sel:DWORD dst_unused:UNUSED_PAD src0_sel:DWORD src1_sel:WORD_1
	v_lshrrev_b16_e32 v1, 1, v1
	v_add_u16_sdwa v0, v1, v0 dst_sel:DWORD dst_unused:UNUSED_PAD src0_sel:DWORD src1_sel:WORD_1
	v_lshrrev_b16_e32 v97, 4, v0
	v_mul_lo_u16_e32 v0, 27, v97
	v_sub_u16_e32 v98, v74, v0
	v_lshlrev_b16_e32 v0, 5, v98
	v_mov_b32_e32 v1, v181
	v_lshl_add_u64 v[4:5], s[10:11], 0, v[0:1]
	scratch_store_dwordx4 off, v[6:9], off offset:632 ; 16-byte Folded Spill
	global_load_dwordx4 v[8:11], v[4:5], off offset:384
	v_fmac_f64_e32 v[54:55], v[2:3], v[6:7]
	ds_read_b128 v[0:3], v108 offset:13104
	s_waitcnt vmcnt(0) lgkmcnt(0)
	v_mul_f64 v[6:7], v[2:3], v[10:11]
	v_mul_f64 v[42:43], v[0:1], v[10:11]
	v_fma_f64 v[38:39], v[0:1], v[8:9], -v[6:7]
	scratch_store_dwordx4 off, v[8:11], off offset:676 ; 16-byte Folded Spill
	v_fmac_f64_e32 v[42:43], v[2:3], v[8:9]
	global_load_dwordx4 v[6:9], v[4:5], off offset:400
	ds_read_b128 v[0:3], v108 offset:22176
	s_waitcnt vmcnt(0) lgkmcnt(0)
	v_mul_f64 v[4:5], v[2:3], v[8:9]
	v_fma_f64 v[44:45], v[0:1], v[6:7], -v[4:5]
	v_mul_f64 v[48:49], v[0:1], v[8:9]
	v_mul_u32_u24_sdwa v0, v72, s14 dst_sel:DWORD dst_unused:UNUSED_PAD src0_sel:WORD_0 src1_sel:DWORD
	v_sub_u16_sdwa v1, v72, v0 dst_sel:DWORD dst_unused:UNUSED_PAD src0_sel:DWORD src1_sel:WORD_1
	v_lshrrev_b16_e32 v1, 1, v1
	v_add_u16_sdwa v0, v1, v0 dst_sel:DWORD dst_unused:UNUSED_PAD src0_sel:DWORD src1_sel:WORD_1
	v_lshrrev_b16_e32 v95, 4, v0
	v_mul_lo_u16_e32 v0, 27, v95
	v_sub_u16_e32 v96, v72, v0
	v_lshlrev_b16_e32 v0, 5, v96
	v_mov_b32_e32 v1, v181
	v_lshl_add_u64 v[4:5], s[10:11], 0, v[0:1]
	scratch_store_dwordx4 off, v[6:9], off offset:692 ; 16-byte Folded Spill
	global_load_dwordx4 v[8:11], v[4:5], off offset:384
	v_fmac_f64_e32 v[48:49], v[2:3], v[6:7]
	ds_read_b128 v[0:3], v108 offset:14112
	s_waitcnt vmcnt(0) lgkmcnt(0)
	v_mul_f64 v[6:7], v[2:3], v[10:11]
	v_mul_f64 v[34:35], v[0:1], v[10:11]
	v_fma_f64 v[30:31], v[0:1], v[8:9], -v[6:7]
	scratch_store_dwordx4 off, v[8:11], off offset:732 ; 16-byte Folded Spill
	v_fmac_f64_e32 v[34:35], v[2:3], v[8:9]
	global_load_dwordx4 v[6:9], v[4:5], off offset:400
	ds_read_b128 v[0:3], v108 offset:23184
	s_waitcnt vmcnt(0) lgkmcnt(0)
	v_mul_f64 v[4:5], v[2:3], v[8:9]
	v_fma_f64 v[36:37], v[0:1], v[6:7], -v[4:5]
	v_mul_f64 v[40:41], v[0:1], v[8:9]
	v_mul_u32_u24_sdwa v0, v116, s14 dst_sel:DWORD dst_unused:UNUSED_PAD src0_sel:WORD_0 src1_sel:DWORD
	v_sub_u16_sdwa v1, v116, v0 dst_sel:DWORD dst_unused:UNUSED_PAD src0_sel:DWORD src1_sel:WORD_1
	v_lshrrev_b16_e32 v1, 1, v1
	v_add_u16_sdwa v0, v1, v0 dst_sel:DWORD dst_unused:UNUSED_PAD src0_sel:DWORD src1_sel:WORD_1
	v_lshrrev_b16_e32 v93, 4, v0
	v_mul_lo_u16_e32 v0, 27, v93
	v_sub_u16_e32 v94, v116, v0
	v_lshlrev_b16_e32 v0, 5, v94
	v_mov_b32_e32 v1, v181
	v_accvgpr_write_b32 a165, v9
	v_lshl_add_u64 v[4:5], s[10:11], 0, v[0:1]
	v_accvgpr_write_b32 a164, v8
	v_accvgpr_write_b32 a163, v7
	;; [unrolled: 1-line block ×3, first 2 shown]
	global_load_dwordx4 v[8:11], v[4:5], off offset:384
	v_fmac_f64_e32 v[40:41], v[2:3], v[6:7]
	ds_read_b128 v[0:3], v108 offset:15120
	s_waitcnt vmcnt(0) lgkmcnt(0)
	v_mul_f64 v[6:7], v[2:3], v[10:11]
	v_mul_f64 v[26:27], v[0:1], v[10:11]
	v_accvgpr_write_b32 a169, v11
	v_fma_f64 v[22:23], v[0:1], v[8:9], -v[6:7]
	v_accvgpr_write_b32 a168, v10
	v_accvgpr_write_b32 a167, v9
	;; [unrolled: 1-line block ×3, first 2 shown]
	v_fmac_f64_e32 v[26:27], v[2:3], v[8:9]
	global_load_dwordx4 v[6:9], v[4:5], off offset:400
	ds_read_b128 v[0:3], v108 offset:24192
	s_waitcnt vmcnt(0) lgkmcnt(0)
	v_mul_f64 v[4:5], v[2:3], v[8:9]
	v_fma_f64 v[28:29], v[0:1], v[6:7], -v[4:5]
	v_mul_f64 v[32:33], v[0:1], v[8:9]
	v_mul_u32_u24_sdwa v0, v124, s14 dst_sel:DWORD dst_unused:UNUSED_PAD src0_sel:WORD_0 src1_sel:DWORD
	v_sub_u16_sdwa v1, v124, v0 dst_sel:DWORD dst_unused:UNUSED_PAD src0_sel:DWORD src1_sel:WORD_1
	v_lshrrev_b16_e32 v1, 1, v1
	v_add_u16_sdwa v0, v1, v0 dst_sel:DWORD dst_unused:UNUSED_PAD src0_sel:DWORD src1_sel:WORD_1
	v_lshrrev_b16_e32 v85, 4, v0
	v_mul_lo_u16_e32 v0, 27, v85
	v_sub_u16_e32 v92, v124, v0
	v_lshlrev_b16_e32 v0, 5, v92
	v_mov_b32_e32 v1, v181
	v_accvgpr_write_b32 a173, v9
	v_lshl_add_u64 v[4:5], s[10:11], 0, v[0:1]
	v_accvgpr_write_b32 a172, v8
	v_accvgpr_write_b32 a171, v7
	;; [unrolled: 1-line block ×3, first 2 shown]
	global_load_dwordx4 v[8:11], v[4:5], off offset:384
	v_fmac_f64_e32 v[32:33], v[2:3], v[6:7]
	ds_read_b128 v[0:3], v108 offset:16128
	s_waitcnt vmcnt(0) lgkmcnt(0)
	v_mul_f64 v[6:7], v[2:3], v[10:11]
	v_mul_f64 v[18:19], v[0:1], v[10:11]
	v_accvgpr_write_b32 a177, v11
	v_fma_f64 v[14:15], v[0:1], v[8:9], -v[6:7]
	v_accvgpr_write_b32 a176, v10
	v_accvgpr_write_b32 a175, v9
	;; [unrolled: 1-line block ×3, first 2 shown]
	v_fmac_f64_e32 v[18:19], v[2:3], v[8:9]
	global_load_dwordx4 v[6:9], v[4:5], off offset:400
	ds_read_b128 v[0:3], v108 offset:25200
	s_waitcnt vmcnt(0) lgkmcnt(0)
	v_mul_f64 v[4:5], v[2:3], v[8:9]
	v_fma_f64 v[20:21], v[0:1], v[6:7], -v[4:5]
	v_mul_f64 v[24:25], v[0:1], v[8:9]
	v_mul_u32_u24_sdwa v0, v132, s14 dst_sel:DWORD dst_unused:UNUSED_PAD src0_sel:WORD_0 src1_sel:DWORD
	v_sub_u16_sdwa v1, v132, v0 dst_sel:DWORD dst_unused:UNUSED_PAD src0_sel:DWORD src1_sel:WORD_1
	v_lshrrev_b16_e32 v1, 1, v1
	v_add_u16_sdwa v0, v1, v0 dst_sel:DWORD dst_unused:UNUSED_PAD src0_sel:DWORD src1_sel:WORD_1
	v_lshrrev_b16_e32 v73, 4, v0
	v_mul_lo_u16_e32 v0, 27, v73
	v_sub_u16_e32 v75, v132, v0
	v_lshlrev_b16_e32 v0, 5, v75
	v_mov_b32_e32 v1, v181
	v_lshl_add_u64 v[4:5], s[10:11], 0, v[0:1]
	global_load_dwordx4 v[68:71], v[4:5], off offset:384
	v_fmac_f64_e32 v[24:25], v[2:3], v[6:7]
	ds_read_b128 v[0:3], v108 offset:17136
	v_accvgpr_write_b32 a181, v9
	v_accvgpr_write_b32 a180, v8
	;; [unrolled: 1-line block ×4, first 2 shown]
	s_movk_i32 s14, 0x51
	s_waitcnt vmcnt(0) lgkmcnt(0)
	v_mul_f64 v[6:7], v[2:3], v[70:71]
	v_mul_f64 v[10:11], v[0:1], v[70:71]
	v_accvgpr_write_b32 a185, v71
	v_fma_f64 v[8:9], v[0:1], v[68:69], -v[6:7]
	v_accvgpr_write_b32 a184, v70
	v_accvgpr_write_b32 a183, v69
	;; [unrolled: 1-line block ×3, first 2 shown]
	v_fmac_f64_e32 v[10:11], v[2:3], v[68:69]
	global_load_dwordx4 v[68:71], v[4:5], off offset:400
	ds_read_b128 v[0:3], v108 offset:26208
	s_waitcnt vmcnt(0) lgkmcnt(0)
	v_mul_f64 v[4:5], v[2:3], v[70:71]
	v_mul_f64 v[16:17], v[0:1], v[70:71]
	v_accvgpr_write_b32 a189, v71
	v_fma_f64 v[12:13], v[0:1], v[68:69], -v[4:5]
	v_accvgpr_write_b32 a188, v70
	v_accvgpr_write_b32 a187, v69
	;; [unrolled: 1-line block ×3, first 2 shown]
	v_fmac_f64_e32 v[16:17], v[2:3], v[68:69]
	ds_read_b128 v[68:71], v108
	v_mul_lo_u16_e32 v4, 0x51, v105
	v_and_b32_e32 v4, 0xff, v4
	v_add_lshl_u32 v105, v4, v106, 4
	ds_read_b128 v[4:7], v108 offset:8064
	ds_read_b128 v[112:115], v108 offset:1008
	ds_read_b128 v[118:121], v108 offset:2016
	ds_read_b128 v[126:129], v108 offset:3024
	ds_read_b128 v[134:137], v108 offset:4032
	ds_read_b128 v[138:141], v108 offset:5040
	ds_read_b128 v[142:145], v108 offset:6048
	ds_read_b128 v[146:149], v108 offset:7056
	s_waitcnt lgkmcnt(8)
	v_add_f64 v[0:1], v[68:69], v[62:63]
	v_add_f64 v[2:3], v[70:71], v[66:67]
	;; [unrolled: 1-line block ×4, first 2 shown]
	s_waitcnt lgkmcnt(0)
	; wave barrier
	s_waitcnt lgkmcnt(0)
	ds_write_b128 v105, v[0:3]
	v_add_f64 v[0:1], v[62:63], v[88:89]
	v_fmac_f64_e32 v[68:69], -0.5, v[0:1]
	v_add_f64 v[0:1], v[66:67], v[90:91]
	v_add_f64 v[106:107], v[66:67], -v[90:91]
	v_fmac_f64_e32 v[70:71], -0.5, v[0:1]
	v_add_f64 v[62:63], v[62:63], -v[88:89]
	v_fma_f64 v[0:1], s[2:3], v[106:107], v[68:69]
	v_fma_f64 v[2:3], s[12:13], v[62:63], v[70:71]
	ds_write_b128 v105, v[0:3] offset:432
	v_fmac_f64_e32 v[68:69], s[12:13], v[106:107]
	v_fmac_f64_e32 v[70:71], s[2:3], v[62:63]
	v_add_f64 v[0:1], v[112:113], v[78:79]
	v_add_f64 v[2:3], v[114:115], v[80:81]
	v_mul_u32_u24_e32 v62, 0x51, v103
	ds_write_b128 v105, v[68:71] offset:864
	v_add_f64 v[0:1], v[0:1], v[82:83]
	v_add_f64 v[2:3], v[2:3], v[86:87]
	v_add_lshl_u32 v68, v62, v104, 4
	ds_write_b128 v68, v[0:3]
	v_add_f64 v[0:1], v[78:79], v[82:83]
	v_fmac_f64_e32 v[112:113], -0.5, v[0:1]
	v_add_f64 v[0:1], v[80:81], v[86:87]
	v_add_f64 v[62:63], v[80:81], -v[86:87]
	v_fmac_f64_e32 v[114:115], -0.5, v[0:1]
	v_add_f64 v[66:67], v[78:79], -v[82:83]
	v_fma_f64 v[0:1], s[2:3], v[62:63], v[112:113]
	v_fma_f64 v[2:3], s[12:13], v[66:67], v[114:115]
	ds_write_b128 v68, v[0:3] offset:432
	v_fmac_f64_e32 v[112:113], s[12:13], v[62:63]
	v_add_f64 v[0:1], v[118:119], v[56:57]
	v_add_f64 v[2:3], v[120:121], v[58:59]
	v_mul_u32_u24_e32 v62, 0x51, v101
	v_fmac_f64_e32 v[114:115], s[2:3], v[66:67]
	v_add_f64 v[0:1], v[0:1], v[60:61]
	v_add_f64 v[2:3], v[2:3], v[64:65]
	v_add_lshl_u32 v66, v62, v102, 4
	ds_write_b128 v68, v[112:115] offset:864
	ds_write_b128 v66, v[0:3]
	v_add_f64 v[0:1], v[56:57], v[60:61]
	v_fmac_f64_e32 v[118:119], -0.5, v[0:1]
	v_add_f64 v[0:1], v[58:59], v[64:65]
	v_add_f64 v[62:63], v[58:59], -v[64:65]
	v_fmac_f64_e32 v[120:121], -0.5, v[0:1]
	v_add_f64 v[56:57], v[56:57], -v[60:61]
	v_fma_f64 v[0:1], s[2:3], v[62:63], v[118:119]
	v_fma_f64 v[2:3], s[12:13], v[56:57], v[120:121]
	ds_write_b128 v66, v[0:3] offset:432
	v_fmac_f64_e32 v[120:121], s[2:3], v[56:57]
	v_add_f64 v[0:1], v[126:127], v[46:47]
	v_add_f64 v[2:3], v[128:129], v[50:51]
	v_mul_u32_u24_e32 v56, 0x51, v99
	v_fmac_f64_e32 v[118:119], s[12:13], v[62:63]
	v_add_f64 v[0:1], v[0:1], v[52:53]
	v_add_f64 v[2:3], v[2:3], v[54:55]
	v_add_lshl_u32 v58, v56, v100, 4
	ds_write_b128 v66, v[118:121] offset:864
	ds_write_b128 v58, v[0:3]
	v_add_f64 v[0:1], v[46:47], v[52:53]
	v_fmac_f64_e32 v[126:127], -0.5, v[0:1]
	v_add_f64 v[0:1], v[50:51], v[54:55]
	v_add_f64 v[56:57], v[50:51], -v[54:55]
	v_fmac_f64_e32 v[128:129], -0.5, v[0:1]
	v_add_f64 v[46:47], v[46:47], -v[52:53]
	v_fma_f64 v[0:1], s[2:3], v[56:57], v[126:127]
	v_fma_f64 v[2:3], s[12:13], v[46:47], v[128:129]
	ds_write_b128 v58, v[0:3] offset:432
	v_fmac_f64_e32 v[128:129], s[2:3], v[46:47]
	v_add_f64 v[0:1], v[134:135], v[38:39]
	v_add_f64 v[2:3], v[136:137], v[42:43]
	v_mad_legacy_u16 v46, v97, s14, v98
	v_fmac_f64_e32 v[126:127], s[12:13], v[56:57]
	v_add_f64 v[0:1], v[0:1], v[44:45]
	v_add_f64 v[2:3], v[2:3], v[48:49]
	v_lshlrev_b32_e32 v50, 4, v46
	ds_write_b128 v58, v[126:129] offset:864
	ds_write_b128 v50, v[0:3]
	v_add_f64 v[0:1], v[38:39], v[44:45]
	v_fmac_f64_e32 v[134:135], -0.5, v[0:1]
	v_add_f64 v[0:1], v[42:43], v[48:49]
	v_add_f64 v[46:47], v[42:43], -v[48:49]
	v_fmac_f64_e32 v[136:137], -0.5, v[0:1]
	v_add_f64 v[38:39], v[38:39], -v[44:45]
	v_fma_f64 v[0:1], s[2:3], v[46:47], v[134:135]
	v_fma_f64 v[2:3], s[12:13], v[38:39], v[136:137]
	ds_write_b128 v50, v[0:3] offset:432
	v_fmac_f64_e32 v[136:137], s[2:3], v[38:39]
	v_add_f64 v[0:1], v[138:139], v[30:31]
	v_add_f64 v[2:3], v[140:141], v[34:35]
	v_mad_legacy_u16 v38, v95, s14, v96
	v_fmac_f64_e32 v[134:135], s[12:13], v[46:47]
	v_add_f64 v[0:1], v[0:1], v[36:37]
	v_add_f64 v[2:3], v[2:3], v[40:41]
	v_lshlrev_b32_e32 v42, 4, v38
	;; [unrolled: 19-line block ×5, first 2 shown]
	ds_write_b128 v26, v[146:149] offset:864
	ds_write_b128 v18, v[0:3]
	v_add_f64 v[0:1], v[8:9], v[12:13]
	v_fmac_f64_e32 v[4:5], -0.5, v[0:1]
	v_add_f64 v[0:1], v[10:11], v[16:17]
	v_add_f64 v[14:15], v[10:11], -v[16:17]
	v_fmac_f64_e32 v[6:7], -0.5, v[0:1]
	v_add_f64 v[8:9], v[8:9], -v[12:13]
	v_fma_f64 v[0:1], s[2:3], v[14:15], v[4:5]
	v_fma_f64 v[2:3], s[12:13], v[8:9], v[6:7]
	v_fmac_f64_e32 v[4:5], s[12:13], v[14:15]
	v_fmac_f64_e32 v[6:7], s[2:3], v[8:9]
	ds_write_b128 v18, v[4:7] offset:864
	v_lshlrev_b32_e32 v6, 5, v110
	scratch_store_dword off, v105, off offset:416 ; 4-byte Folded Spill
	scratch_store_dword off, v68, off offset:436 ; 4-byte Folded Spill
	;; [unrolled: 1-line block ×8, first 2 shown]
	ds_write_b128 v18, v[0:3] offset:432
	s_waitcnt lgkmcnt(0)
	; wave barrier
	s_waitcnt lgkmcnt(0)
	global_load_dwordx4 v[8:11], v6, s[10:11] offset:1248
	ds_read_b128 v[0:3], v108 offset:9072
	s_movk_i32 s14, 0xffee
	s_mov_b32 s15, -1
	v_accvgpr_write_b32 a160, v18
	s_waitcnt vmcnt(0) lgkmcnt(0)
	v_mul_f64 v[4:5], v[2:3], v[10:11]
	v_mul_f64 v[160:161], v[0:1], v[10:11]
	v_accvgpr_write_b32 a97, v11
	v_fma_f64 v[156:157], v[0:1], v[8:9], -v[4:5]
	v_accvgpr_write_b32 a96, v10
	v_accvgpr_write_b32 a95, v9
	;; [unrolled: 1-line block ×3, first 2 shown]
	v_fmac_f64_e32 v[160:161], v[2:3], v[8:9]
	global_load_dwordx4 v[6:9], v6, s[10:11] offset:1264
	ds_read_b128 v[0:3], v108 offset:18144
	s_waitcnt vmcnt(0) lgkmcnt(0)
	v_mul_f64 v[4:5], v[2:3], v[8:9]
	v_fma_f64 v[170:171], v[0:1], v[6:7], -v[4:5]
	v_mul_f64 v[172:173], v[0:1], v[8:9]
	v_lshl_add_u64 v[0:1], v[110:111], 0, s[14:15]
	v_cndmask_b32_e32 v165, v1, v77, vcc
	v_cndmask_b32_e32 v164, v0, v76, vcc
	v_lshlrev_b64 v[0:1], 5, v[164:165]
	v_accvgpr_write_b32 a101, v9
	v_lshl_add_u64 v[4:5], s[10:11], 0, v[0:1]
	v_accvgpr_write_b32 a100, v8
	v_accvgpr_write_b32 a99, v7
	;; [unrolled: 1-line block ×3, first 2 shown]
	global_load_dwordx4 v[8:11], v[4:5], off offset:1248
	v_fmac_f64_e32 v[172:173], v[2:3], v[6:7]
	ds_read_b128 v[0:3], v108 offset:10080
	s_movk_i32 s14, 0xcb
	v_add_f64 v[80:81], v[160:161], -v[172:173]
	v_add_f64 v[82:83], v[156:157], -v[170:171]
	v_cmp_lt_u16_e32 vcc, 17, v110
	s_waitcnt vmcnt(0) lgkmcnt(0)
	v_mul_f64 v[6:7], v[2:3], v[10:11]
	v_mul_f64 v[162:163], v[0:1], v[10:11]
	v_accvgpr_write_b32 a89, v11
	v_fma_f64 v[158:159], v[0:1], v[8:9], -v[6:7]
	v_accvgpr_write_b32 a88, v10
	v_accvgpr_write_b32 a87, v9
	;; [unrolled: 1-line block ×3, first 2 shown]
	v_fmac_f64_e32 v[162:163], v[2:3], v[8:9]
	global_load_dwordx4 v[6:9], v[4:5], off offset:1264
	ds_read_b128 v[0:3], v108 offset:19152
	s_waitcnt vmcnt(0) lgkmcnt(0)
	v_mul_f64 v[4:5], v[2:3], v[8:9]
	v_fma_f64 v[166:167], v[0:1], v[6:7], -v[4:5]
	v_mul_f64 v[168:169], v[0:1], v[8:9]
	v_mul_lo_u16_sdwa v0, v84, s14 dst_sel:DWORD dst_unused:UNUSED_PAD src0_sel:BYTE_0 src1_sel:DWORD
	v_lshrrev_b16_e32 v177, 14, v0
	v_mul_lo_u16_e32 v0, 0x51, v177
	v_sub_u16_e32 v0, v84, v0
	v_accvgpr_write_b32 a109, v9
	v_and_b32_e32 v178, 0xff, v0
	v_accvgpr_write_b32 a108, v8
	v_accvgpr_write_b32 a107, v7
	;; [unrolled: 1-line block ×3, first 2 shown]
	v_fmac_f64_e32 v[168:169], v[2:3], v[6:7]
	v_lshlrev_b32_e32 v6, 5, v178
	global_load_dwordx4 v[8:11], v6, s[10:11] offset:1248
	ds_read_b128 v[0:3], v108 offset:11088
	s_waitcnt vmcnt(0) lgkmcnt(0)
	v_mul_f64 v[4:5], v[2:3], v[10:11]
	v_mul_f64 v[150:151], v[0:1], v[10:11]
	v_accvgpr_write_b32 a105, v11
	v_fma_f64 v[148:149], v[0:1], v[8:9], -v[4:5]
	v_accvgpr_write_b32 a104, v10
	v_accvgpr_write_b32 a103, v9
	v_accvgpr_write_b32 a102, v8
	v_fmac_f64_e32 v[150:151], v[2:3], v[8:9]
	global_load_dwordx4 v[6:9], v6, s[10:11] offset:1264
	ds_read_b128 v[0:3], v108 offset:20160
	s_waitcnt vmcnt(0) lgkmcnt(0)
	v_mul_f64 v[4:5], v[2:3], v[8:9]
	v_fma_f64 v[152:153], v[0:1], v[6:7], -v[4:5]
	v_mul_f64 v[154:155], v[0:1], v[8:9]
	v_mul_lo_u16_sdwa v0, v208, s14 dst_sel:DWORD dst_unused:UNUSED_PAD src0_sel:BYTE_0 src1_sel:DWORD
	v_lshrrev_b16_e32 v175, 14, v0
	v_mul_lo_u16_e32 v0, 0x51, v175
	v_sub_u16_e32 v0, v208, v0
	v_accvgpr_write_b32 a43, v9
	v_and_b32_e32 v176, 0xff, v0
	v_accvgpr_write_b32 a42, v8
	v_accvgpr_write_b32 a41, v7
	;; [unrolled: 1-line block ×3, first 2 shown]
	v_fmac_f64_e32 v[154:155], v[2:3], v[6:7]
	v_lshlrev_b32_e32 v6, 5, v176
	global_load_dwordx4 v[8:11], v6, s[10:11] offset:1248
	ds_read_b128 v[0:3], v108 offset:12096
	s_movk_i32 s14, 0x6523
	s_waitcnt vmcnt(0) lgkmcnt(0)
	v_mul_f64 v[4:5], v[2:3], v[10:11]
	v_mul_f64 v[142:143], v[0:1], v[10:11]
	v_accvgpr_write_b32 a39, v11
	v_fma_f64 v[140:141], v[0:1], v[8:9], -v[4:5]
	v_accvgpr_write_b32 a38, v10
	v_accvgpr_write_b32 a37, v9
	;; [unrolled: 1-line block ×3, first 2 shown]
	v_fmac_f64_e32 v[142:143], v[2:3], v[8:9]
	global_load_dwordx4 v[6:9], v6, s[10:11] offset:1264
	ds_read_b128 v[0:3], v108 offset:21168
	s_waitcnt vmcnt(0) lgkmcnt(0)
	v_mul_f64 v[4:5], v[2:3], v[8:9]
	v_fma_f64 v[144:145], v[0:1], v[6:7], -v[4:5]
	v_mul_f64 v[146:147], v[0:1], v[8:9]
	v_mul_u32_u24_sdwa v0, v74, s14 dst_sel:DWORD dst_unused:UNUSED_PAD src0_sel:WORD_0 src1_sel:DWORD
	v_lshrrev_b32_e32 v0, 21, v0
	v_mul_lo_u16_e32 v0, 0x51, v0
	v_sub_u16_e32 v174, v74, v0
	v_lshlrev_b16_e32 v0, 5, v174
	v_mov_b32_e32 v1, v181
	v_accvgpr_write_b32 a47, v9
	v_lshl_add_u64 v[4:5], s[10:11], 0, v[0:1]
	v_accvgpr_write_b32 a46, v8
	v_accvgpr_write_b32 a45, v7
	v_accvgpr_write_b32 a44, v6
	global_load_dwordx4 v[8:11], v[4:5], off offset:1248
	v_fmac_f64_e32 v[146:147], v[2:3], v[6:7]
	ds_read_b128 v[0:3], v108 offset:13104
	s_waitcnt vmcnt(0) lgkmcnt(0)
	v_mul_f64 v[6:7], v[2:3], v[10:11]
	v_mul_f64 v[66:67], v[0:1], v[10:11]
	v_accvgpr_write_b32 a119, v11
	v_fma_f64 v[64:65], v[0:1], v[8:9], -v[6:7]
	v_accvgpr_write_b32 a118, v10
	v_accvgpr_write_b32 a117, v9
	v_accvgpr_write_b32 a116, v8
	v_fmac_f64_e32 v[66:67], v[2:3], v[8:9]
	global_load_dwordx4 v[6:9], v[4:5], off offset:1264
	ds_read_b128 v[0:3], v108 offset:22176
	s_waitcnt vmcnt(0) lgkmcnt(0)
	v_mul_f64 v[4:5], v[2:3], v[8:9]
	v_fma_f64 v[68:69], v[0:1], v[6:7], -v[4:5]
	v_mul_f64 v[70:71], v[0:1], v[8:9]
	v_mul_u32_u24_sdwa v0, v72, s14 dst_sel:DWORD dst_unused:UNUSED_PAD src0_sel:WORD_0 src1_sel:DWORD
	v_lshrrev_b32_e32 v111, 21, v0
	v_mul_lo_u16_e32 v0, 0x51, v111
	v_sub_u16_e32 v165, v72, v0
	v_lshlrev_b16_e32 v0, 5, v165
	v_mov_b32_e32 v1, v181
	v_accvgpr_write_b32 a123, v9
	v_lshl_add_u64 v[4:5], s[10:11], 0, v[0:1]
	v_accvgpr_write_b32 a122, v8
	v_accvgpr_write_b32 a121, v7
	v_accvgpr_write_b32 a120, v6
	global_load_dwordx4 v[8:11], v[4:5], off offset:1248
	v_fmac_f64_e32 v[70:71], v[2:3], v[6:7]
	ds_read_b128 v[0:3], v108 offset:14112
	s_waitcnt vmcnt(0) lgkmcnt(0)
	v_mul_f64 v[6:7], v[2:3], v[10:11]
	v_mul_f64 v[58:59], v[0:1], v[10:11]
	v_accvgpr_write_b32 a127, v11
	v_fma_f64 v[56:57], v[0:1], v[8:9], -v[6:7]
	v_accvgpr_write_b32 a126, v10
	v_accvgpr_write_b32 a125, v9
	v_accvgpr_write_b32 a124, v8
	v_fmac_f64_e32 v[58:59], v[2:3], v[8:9]
	global_load_dwordx4 v[6:9], v[4:5], off offset:1264
	;; [unrolled: 29-line block ×4, first 2 shown]
	ds_read_b128 v[0:3], v108 offset:25200
	s_waitcnt vmcnt(0) lgkmcnt(0)
	v_mul_f64 v[4:5], v[2:3], v[8:9]
	v_fma_f64 v[38:39], v[0:1], v[6:7], -v[4:5]
	v_mul_f64 v[44:45], v[0:1], v[8:9]
	v_mul_u32_u24_sdwa v0, v132, s14 dst_sel:DWORD dst_unused:UNUSED_PAD src0_sel:WORD_0 src1_sel:DWORD
	v_lshrrev_b32_e32 v0, 21, v0
	v_mul_lo_u16_e32 v0, 0x51, v0
	v_sub_u16_e32 v78, v132, v0
	v_lshlrev_b16_e32 v0, 5, v78
	v_mov_b32_e32 v1, v181
	v_accvgpr_write_b32 a147, v9
	v_lshl_add_u64 v[4:5], s[10:11], 0, v[0:1]
	v_accvgpr_write_b32 a146, v8
	v_accvgpr_write_b32 a145, v7
	;; [unrolled: 1-line block ×3, first 2 shown]
	global_load_dwordx4 v[8:11], v[4:5], off offset:1248
	v_fmac_f64_e32 v[44:45], v[2:3], v[6:7]
	ds_read_b128 v[0:3], v108 offset:17136
	s_movk_i32 s14, 0xf3
	s_waitcnt vmcnt(0) lgkmcnt(0)
	v_mul_f64 v[6:7], v[2:3], v[10:11]
	v_mul_f64 v[42:43], v[0:1], v[10:11]
	v_accvgpr_write_b32 a151, v11
	v_fma_f64 v[36:37], v[0:1], v[8:9], -v[6:7]
	v_accvgpr_write_b32 a150, v10
	v_accvgpr_write_b32 a149, v9
	;; [unrolled: 1-line block ×3, first 2 shown]
	v_fmac_f64_e32 v[42:43], v[2:3], v[8:9]
	global_load_dwordx4 v[6:9], v[4:5], off offset:1264
	ds_read_b128 v[0:3], v108 offset:26208
	s_waitcnt vmcnt(0) lgkmcnt(0)
	v_mul_f64 v[4:5], v[2:3], v[8:9]
	v_mul_f64 v[52:53], v[0:1], v[8:9]
	v_fma_f64 v[48:49], v[0:1], v[6:7], -v[4:5]
	v_fmac_f64_e32 v[52:53], v[2:3], v[6:7]
	ds_read_b128 v[0:3], v108
	v_accvgpr_write_b32 a155, v9
	v_accvgpr_write_b32 a154, v8
	v_accvgpr_write_b32 a153, v7
	v_accvgpr_write_b32 a152, v6
	s_waitcnt lgkmcnt(0)
	v_add_f64 v[4:5], v[0:1], v[156:157]
	v_add_f64 v[6:7], v[2:3], v[160:161]
	;; [unrolled: 1-line block ×4, first 2 shown]
	ds_read_b128 v[212:215], v108 offset:8064
	ds_read_b128 v[28:31], v108 offset:1008
	;; [unrolled: 1-line block ×8, first 2 shown]
	s_waitcnt lgkmcnt(0)
	; wave barrier
	s_waitcnt lgkmcnt(0)
	ds_write_b128 v108, v[4:7]
	v_add_f64 v[4:5], v[156:157], v[170:171]
	v_fmac_f64_e32 v[0:1], -0.5, v[4:5]
	v_add_f64 v[4:5], v[160:161], v[172:173]
	v_fmac_f64_e32 v[2:3], -0.5, v[4:5]
	v_fma_f64 v[4:5], s[2:3], v[80:81], v[0:1]
	v_fma_f64 v[6:7], s[12:13], v[82:83], v[2:3]
	ds_write_b128 v108, v[4:7] offset:1296
	v_fmac_f64_e32 v[0:1], s[12:13], v[80:81]
	v_fmac_f64_e32 v[2:3], s[2:3], v[82:83]
	v_mov_b32_e32 v4, 0xf3
	ds_write_b128 v108, v[0:3] offset:2592
	v_add_f64 v[0:1], v[28:29], v[158:159]
	v_add_f64 v[2:3], v[30:31], v[162:163]
	v_cndmask_b32_e32 v4, 0, v4, vcc
	v_add_f64 v[0:1], v[0:1], v[166:167]
	v_add_f64 v[2:3], v[2:3], v[168:169]
	v_add_lshl_u32 v72, v164, v4, 4
	ds_write_b128 v72, v[0:3]
	v_add_f64 v[0:1], v[158:159], v[166:167]
	v_fmac_f64_e32 v[28:29], -0.5, v[0:1]
	v_add_f64 v[0:1], v[162:163], v[168:169]
	v_add_f64 v[4:5], v[162:163], -v[168:169]
	v_fmac_f64_e32 v[30:31], -0.5, v[0:1]
	v_add_f64 v[6:7], v[158:159], -v[166:167]
	v_fma_f64 v[0:1], s[2:3], v[4:5], v[28:29]
	v_fma_f64 v[2:3], s[12:13], v[6:7], v[30:31]
	ds_write_b128 v72, v[0:3] offset:1296
	v_fmac_f64_e32 v[28:29], s[12:13], v[4:5]
	v_fmac_f64_e32 v[30:31], s[2:3], v[6:7]
	v_add_f64 v[0:1], v[24:25], v[148:149]
	v_add_f64 v[2:3], v[26:27], v[150:151]
	v_mul_u32_u24_e32 v4, 0xf3, v177
	ds_write_b128 v72, v[28:31] offset:2592
	v_add_f64 v[0:1], v[0:1], v[152:153]
	v_add_f64 v[2:3], v[2:3], v[154:155]
	v_add_lshl_u32 v28, v4, v178, 4
	ds_write_b128 v28, v[0:3]
	v_add_f64 v[0:1], v[148:149], v[152:153]
	v_fmac_f64_e32 v[24:25], -0.5, v[0:1]
	v_add_f64 v[0:1], v[150:151], v[154:155]
	v_add_f64 v[4:5], v[150:151], -v[154:155]
	v_fmac_f64_e32 v[26:27], -0.5, v[0:1]
	v_add_f64 v[6:7], v[148:149], -v[152:153]
	v_fma_f64 v[0:1], s[2:3], v[4:5], v[24:25]
	v_fma_f64 v[2:3], s[12:13], v[6:7], v[26:27]
	ds_write_b128 v28, v[0:3] offset:1296
	v_fmac_f64_e32 v[24:25], s[12:13], v[4:5]
	v_fmac_f64_e32 v[26:27], s[2:3], v[6:7]
	v_add_f64 v[0:1], v[20:21], v[140:141]
	v_add_f64 v[2:3], v[22:23], v[142:143]
	v_mul_u32_u24_e32 v4, 0xf3, v175
	ds_write_b128 v28, v[24:27] offset:2592
	v_add_f64 v[0:1], v[0:1], v[144:145]
	v_add_f64 v[2:3], v[2:3], v[146:147]
	v_add_lshl_u32 v24, v4, v176, 4
	ds_write_b128 v24, v[0:3]
	v_add_f64 v[0:1], v[140:141], v[144:145]
	v_fmac_f64_e32 v[20:21], -0.5, v[0:1]
	v_add_f64 v[0:1], v[142:143], v[146:147]
	v_add_f64 v[4:5], v[142:143], -v[146:147]
	v_fmac_f64_e32 v[22:23], -0.5, v[0:1]
	v_add_f64 v[6:7], v[140:141], -v[144:145]
	v_fma_f64 v[0:1], s[2:3], v[4:5], v[20:21]
	v_fma_f64 v[2:3], s[12:13], v[6:7], v[22:23]
	ds_write_b128 v24, v[0:3] offset:1296
	v_fmac_f64_e32 v[20:21], s[12:13], v[4:5]
	v_fmac_f64_e32 v[22:23], s[2:3], v[6:7]
	v_add_f64 v[0:1], v[16:17], v[64:65]
	v_add_f64 v[2:3], v[18:19], v[66:67]
	ds_write_b128 v24, v[20:23] offset:2592
	v_add_f64 v[0:1], v[0:1], v[68:69]
	v_add_f64 v[2:3], v[2:3], v[70:71]
	v_lshlrev_b32_e32 v20, 4, v174
	ds_write_b128 v20, v[0:3] offset:11664
	v_add_f64 v[0:1], v[64:65], v[68:69]
	v_fmac_f64_e32 v[16:17], -0.5, v[0:1]
	v_add_f64 v[0:1], v[66:67], v[70:71]
	v_add_f64 v[4:5], v[66:67], -v[70:71]
	v_fmac_f64_e32 v[18:19], -0.5, v[0:1]
	v_add_f64 v[6:7], v[64:65], -v[68:69]
	v_fma_f64 v[0:1], s[2:3], v[4:5], v[16:17]
	v_fma_f64 v[2:3], s[12:13], v[6:7], v[18:19]
	ds_write_b128 v20, v[0:3] offset:12960
	v_fmac_f64_e32 v[16:17], s[12:13], v[4:5]
	v_fmac_f64_e32 v[18:19], s[2:3], v[6:7]
	v_add_f64 v[0:1], v[12:13], v[56:57]
	v_add_f64 v[2:3], v[14:15], v[58:59]
	v_mad_legacy_u16 v4, v111, s14, v165
	ds_write_b128 v20, v[16:19] offset:14256
	v_add_f64 v[0:1], v[0:1], v[60:61]
	v_add_f64 v[2:3], v[2:3], v[62:63]
	v_lshlrev_b32_e32 v16, 4, v4
	ds_write_b128 v16, v[0:3]
	v_add_f64 v[0:1], v[56:57], v[60:61]
	v_fmac_f64_e32 v[12:13], -0.5, v[0:1]
	v_add_f64 v[0:1], v[58:59], v[62:63]
	v_add_f64 v[4:5], v[58:59], -v[62:63]
	v_fmac_f64_e32 v[14:15], -0.5, v[0:1]
	v_add_f64 v[6:7], v[56:57], -v[60:61]
	v_fma_f64 v[0:1], s[2:3], v[4:5], v[12:13]
	v_fma_f64 v[2:3], s[12:13], v[6:7], v[14:15]
	ds_write_b128 v16, v[0:3] offset:1296
	v_fmac_f64_e32 v[12:13], s[12:13], v[4:5]
	v_fmac_f64_e32 v[14:15], s[2:3], v[6:7]
	v_add_f64 v[0:1], v[8:9], v[40:41]
	v_add_f64 v[2:3], v[10:11], v[46:47]
	v_mad_legacy_u16 v4, v79, s14, v109
	ds_write_b128 v16, v[12:15] offset:2592
	v_add_f64 v[0:1], v[0:1], v[50:51]
	v_add_f64 v[2:3], v[2:3], v[54:55]
	v_lshlrev_b32_e32 v12, 4, v4
	ds_write_b128 v12, v[0:3]
	v_add_f64 v[0:1], v[40:41], v[50:51]
	v_fmac_f64_e32 v[8:9], -0.5, v[0:1]
	v_add_f64 v[0:1], v[46:47], v[54:55]
	v_add_f64 v[4:5], v[46:47], -v[54:55]
	v_fmac_f64_e32 v[10:11], -0.5, v[0:1]
	v_add_f64 v[6:7], v[40:41], -v[50:51]
	v_fma_f64 v[0:1], s[2:3], v[4:5], v[8:9]
	v_fma_f64 v[2:3], s[12:13], v[6:7], v[10:11]
	ds_write_b128 v12, v[0:3] offset:1296
	v_add_f64 v[2:3], v[220:221], v[32:33]
	v_add_f64 v[0:1], v[32:33], v[38:39]
	;; [unrolled: 1-line block ×4, first 2 shown]
	v_fmac_f64_e32 v[8:9], s[12:13], v[4:5]
	v_fmac_f64_e32 v[220:221], -0.5, v[0:1]
	v_add_f64 v[4:5], v[34:35], -v[44:45]
	v_add_f64 v[218:219], v[2:3], v[44:45]
	v_add_f64 v[2:3], v[34:35], v[44:45]
	v_fma_f64 v[0:1], s[2:3], v[4:5], v[220:221]
	v_fmac_f64_e32 v[220:221], s[12:13], v[4:5]
	v_fmac_f64_e32 v[222:223], -0.5, v[2:3]
	v_add_f64 v[4:5], v[32:33], -v[38:39]
	v_fma_f64 v[2:3], s[12:13], v[4:5], v[222:223]
	v_fmac_f64_e32 v[222:223], s[2:3], v[4:5]
	v_add_f64 v[4:5], v[212:213], v[36:37]
	v_add_f64 v[232:233], v[4:5], v[48:49]
	;; [unrolled: 1-line block ×5, first 2 shown]
	v_fmac_f64_e32 v[214:215], -0.5, v[4:5]
	v_add_f64 v[4:5], v[36:37], -v[48:49]
	v_fmac_f64_e32 v[10:11], s[2:3], v[6:7]
	v_add_f64 v[6:7], v[36:37], v[48:49]
	v_fma_f64 v[238:239], s[12:13], v[4:5], v[214:215]
	v_fmac_f64_e32 v[214:215], s[2:3], v[4:5]
	v_mad_legacy_u16 v4, v76, s14, v77
	v_fmac_f64_e32 v[212:213], -0.5, v[6:7]
	v_add_f64 v[6:7], v[42:43], -v[52:53]
	v_lshlrev_b32_e32 v111, 4, v4
	v_lshlrev_b32_e32 v109, 4, v78
	v_accvgpr_write_b32 a111, v28
	v_accvgpr_write_b32 a254, v24
	;; [unrolled: 1-line block ×5, first 2 shown]
	ds_write_b128 v12, v[8:11] offset:2592
	v_fma_f64 v[236:237], s[2:3], v[6:7], v[212:213]
	v_fmac_f64_e32 v[212:213], s[12:13], v[6:7]
	ds_write_b128 v111, v[216:219]
	ds_write_b128 v111, v[0:3] offset:1296
	ds_write_b128 v111, v[220:223] offset:2592
	;; [unrolled: 1-line block ×5, first 2 shown]
	s_waitcnt lgkmcnt(0)
	; wave barrier
	s_waitcnt lgkmcnt(0)
	ds_read_b128 v[4:7], v108
	ds_read_b128 v[228:231], v108 offset:1008
	ds_read_b128 v[48:51], v108 offset:7776
	;; [unrolled: 1-line block ×20, first 2 shown]
	s_load_dwordx2 s[2:3], s[0:1], 0x38
	v_accvgpr_write_b32 a255, v72
	v_cmp_gt_u16_e32 vcc, 54, v110
                                        ; implicit-def: $vgpr52_vgpr53
	s_and_saveexec_b64 s[0:1], vcc
	s_cbranch_execz .LBB0_3
; %bb.2:
	ds_read_b128 v[216:219], v108 offset:3024
	ds_read_b128 v[0:3], v108 offset:6912
	;; [unrolled: 1-line block ×7, first 2 shown]
.LBB0_3:
	s_or_b64 exec, exec, s[0:1]
	s_movk_i32 s0, 0x60
	v_mov_b64_e32 v[68:69], s[10:11]
	v_mad_u64_u32 v[68:69], s[0:1], v110, s0, v[68:69]
	s_mov_b64 s[0:1], 0x17a0
	global_load_dwordx4 v[152:155], v[68:69], off offset:3840
	global_load_dwordx4 v[148:151], v[68:69], off offset:3856
	;; [unrolled: 1-line block ×6, first 2 shown]
	v_lshl_add_u64 v[70:71], v[68:69], 0, s[0:1]
	global_load_dwordx4 v[176:179], v[70:71], off offset:3840
	global_load_dwordx4 v[172:175], v[70:71], off offset:3856
	;; [unrolled: 1-line block ×6, first 2 shown]
	s_mov_b64 s[0:1], 0x2f40
	v_lshl_add_u64 v[68:69], v[68:69], 0, s[0:1]
	global_load_dwordx4 v[200:203], v[68:69], off offset:3840
	global_load_dwordx4 v[196:199], v[68:69], off offset:3856
	;; [unrolled: 1-line block ×5, first 2 shown]
	v_subrev_u32_e32 v70, 54, v110
	v_cndmask_b32_e32 v70, v70, v208, vcc
	global_load_dwordx4 v[208:211], v[68:69], off offset:3920
	v_mul_hi_i32_i24_e32 v69, 0x60, v70
	v_mul_i32_i24_e32 v68, 0x60, v70
	v_lshl_add_u64 v[68:69], s[10:11], 0, v[68:69]
	global_load_dwordx4 v[132:135], v[68:69], off offset:3840
	global_load_dwordx4 v[128:131], v[68:69], off offset:3856
	;; [unrolled: 1-line block ×6, first 2 shown]
	s_mov_b32 s20, 0x37e14327
	s_mov_b32 s12, 0x36b3c0b5
	;; [unrolled: 1-line block ×20, first 2 shown]
	s_waitcnt vmcnt(23) lgkmcnt(0)
	v_mul_f64 v[78:79], v[56:57], v[154:155]
	v_mul_f64 v[68:69], v[58:59], v[154:155]
	s_waitcnt vmcnt(21)
	v_mul_f64 v[76:77], v[62:63], v[146:147]
	s_waitcnt vmcnt(20)
	v_mul_f64 v[86:87], v[44:45], v[74:75]
	v_mul_f64 v[84:85], v[46:47], v[74:75]
	v_fmac_f64_e32 v[86:87], v[46:47], v[72:73]
	s_waitcnt vmcnt(14)
	v_mul_f64 v[46:47], v[22:23], v[166:167]
	v_mul_f64 v[106:107], v[20:21], v[166:167]
	v_fma_f64 v[112:113], v[20:21], v[164:165], -v[46:47]
	s_waitcnt vmcnt(11)
	v_mul_f64 v[20:21], v[18:19], v[202:203]
	v_mul_f64 v[82:83], v[60:61], v[146:147]
	v_fmac_f64_e32 v[78:79], v[58:59], v[152:153]
	v_fma_f64 v[100:101], v[60:61], v[144:145], -v[76:77]
	v_fma_f64 v[58:59], v[16:17], v[200:201], -v[20:21]
	v_mul_f64 v[60:61], v[16:17], v[202:203]
	s_waitcnt vmcnt(10)
	v_mul_f64 v[16:17], v[250:251], v[198:199]
	v_mul_f64 v[90:91], v[64:65], v[162:163]
	v_fmac_f64_e32 v[82:83], v[62:63], v[144:145]
	v_fma_f64 v[62:63], v[248:249], v[196:197], -v[16:17]
	s_waitcnt vmcnt(9)
	v_mul_f64 v[16:17], v[246:247], v[194:195]
	v_mul_f64 v[70:71], v[50:51], v[150:151]
	;; [unrolled: 1-line block ×3, first 2 shown]
	v_fmac_f64_e32 v[90:91], v[66:67], v[160:161]
	v_fma_f64 v[66:67], v[244:245], v[192:193], -v[16:17]
	s_waitcnt vmcnt(8)
	v_mul_f64 v[16:17], v[242:243], v[190:191]
	v_fma_f64 v[98:99], v[48:49], v[148:149], -v[70:71]
	v_fma_f64 v[70:71], v[240:241], v[188:189], -v[16:17]
	v_mul_f64 v[240:241], v[240:241], v[190:191]
	s_waitcnt vmcnt(7)
	v_mul_f64 v[16:17], v[14:15], v[206:207]
	v_fma_f64 v[96:97], v[56:57], v[152:153], -v[68:69]
	v_mul_f64 v[68:69], v[244:245], v[194:195]
	v_fmac_f64_e32 v[240:241], v[242:243], v[188:189]
	v_fma_f64 v[242:243], v[12:13], v[204:205], -v[16:17]
	v_mul_f64 v[244:245], v[12:13], v[206:207]
	s_waitcnt vmcnt(6)
	v_mul_f64 v[12:13], v[10:11], v[210:211]
	v_fma_f64 v[84:85], v[44:45], v[72:73], -v[84:85]
	v_accvgpr_write_b32 a159, v75
	v_fma_f64 v[88:89], v[64:65], v[160:161], -v[88:89]
	v_mul_f64 v[44:45], v[34:35], v[170:171]
	v_mul_f64 v[76:77], v[32:33], v[170:171]
	;; [unrolled: 1-line block ×3, first 2 shown]
	v_fmac_f64_e32 v[68:69], v[246:247], v[192:193]
	v_fma_f64 v[246:247], v[8:9], v[208:209], -v[12:13]
	v_mul_f64 v[248:249], v[8:9], v[210:211]
	s_waitcnt vmcnt(5)
	v_mul_f64 v[8:9], v[2:3], v[134:135]
	v_mul_f64 v[80:81], v[48:49], v[150:151]
	;; [unrolled: 1-line block ×3, first 2 shown]
	v_accvgpr_write_b32 a158, v74
	v_accvgpr_write_b32 a157, v73
	;; [unrolled: 1-line block ×3, first 2 shown]
	v_mul_f64 v[48:49], v[38:39], v[186:187]
	v_fma_f64 v[74:75], v[32:33], v[168:169], -v[44:45]
	v_fmac_f64_e32 v[76:77], v[34:35], v[168:169]
	v_fma_f64 v[32:33], v[0:1], v[132:133], -v[8:9]
	v_mul_f64 v[34:35], v[0:1], v[134:135]
	s_waitcnt vmcnt(4)
	v_mul_f64 v[0:1], v[222:223], v[130:131]
	v_mul_f64 v[94:95], v[40:41], v[158:159]
	v_fma_f64 v[92:93], v[40:41], v[156:157], -v[92:93]
	v_mul_f64 v[40:41], v[30:31], v[178:179]
	v_mul_f64 v[72:73], v[36:37], v[186:187]
	v_fma_f64 v[114:115], v[36:37], v[184:185], -v[48:49]
	v_fma_f64 v[36:37], v[220:221], v[128:129], -v[0:1]
	s_waitcnt vmcnt(2)
	v_mul_f64 v[0:1], v[234:235], v[122:123]
	v_mul_f64 v[102:103], v[28:29], v[178:179]
	v_fma_f64 v[28:29], v[28:29], v[176:177], -v[40:41]
	v_fma_f64 v[40:41], v[232:233], v[120:121], -v[0:1]
	v_mul_f64 v[0:1], v[238:239], v[126:127]
	v_fma_f64 v[44:45], v[236:237], v[124:125], -v[0:1]
	s_waitcnt vmcnt(0)
	v_mul_f64 v[0:1], v[214:215], v[142:143]
	v_fma_f64 v[48:49], v[212:213], v[140:141], -v[0:1]
	v_mul_f64 v[0:1], v[54:55], v[138:139]
	v_fmac_f64_e32 v[80:81], v[50:51], v[148:149]
	v_fmac_f64_e32 v[94:95], v[42:43], v[156:157]
	v_mul_f64 v[42:43], v[26:27], v[174:175]
	v_fma_f64 v[56:57], v[52:53], v[136:137], -v[0:1]
	v_mul_f64 v[52:53], v[52:53], v[138:139]
	v_add_f64 v[0:1], v[96:97], v[92:93]
	v_add_f64 v[12:13], v[98:99], v[88:89]
	v_mul_f64 v[104:105], v[24:25], v[174:175]
	v_fmac_f64_e32 v[102:103], v[30:31], v[176:177]
	v_fma_f64 v[30:31], v[24:25], v[172:173], -v[42:43]
	v_fmac_f64_e32 v[244:245], v[14:15], v[204:205]
	v_fmac_f64_e32 v[34:35], v[2:3], v[132:133]
	;; [unrolled: 1-line block ×3, first 2 shown]
	v_add_f64 v[2:3], v[78:79], v[94:95]
	v_add_f64 v[14:15], v[80:81], v[90:91]
	v_add_f64 v[16:17], v[98:99], -v[88:89]
	v_add_f64 v[20:21], v[100:101], v[84:85]
	v_add_f64 v[24:25], v[84:85], -v[100:101]
	v_add_f64 v[54:55], v[12:13], v[0:1]
	v_fmac_f64_e32 v[104:105], v[26:27], v[172:173]
	v_fmac_f64_e32 v[106:107], v[22:23], v[164:165]
	;; [unrolled: 1-line block ×4, first 2 shown]
	v_add_f64 v[8:9], v[96:97], -v[92:93]
	v_add_f64 v[10:11], v[78:79], -v[94:95]
	;; [unrolled: 1-line block ×3, first 2 shown]
	v_add_f64 v[22:23], v[82:83], v[86:87]
	v_add_f64 v[26:27], v[86:87], -v[82:83]
	v_add_f64 v[78:79], v[14:15], v[2:3]
	v_add_f64 v[80:81], v[12:13], -v[0:1]
	v_add_f64 v[84:85], v[0:1], -v[20:21]
	;; [unrolled: 1-line block ×3, first 2 shown]
	v_add_f64 v[0:1], v[24:25], v[16:17]
	v_add_f64 v[20:21], v[20:21], v[54:55]
	v_add_f64 v[82:83], v[14:15], -v[2:3]
	v_add_f64 v[86:87], v[2:3], -v[22:23]
	;; [unrolled: 1-line block ×3, first 2 shown]
	v_add_f64 v[2:3], v[26:27], v[18:19]
	v_add_f64 v[88:89], v[24:25], -v[16:17]
	v_add_f64 v[24:25], v[8:9], -v[24:25]
	;; [unrolled: 1-line block ×3, first 2 shown]
	v_add_f64 v[22:23], v[22:23], v[78:79]
	v_add_f64 v[8:9], v[0:1], v[8:9]
	;; [unrolled: 1-line block ×3, first 2 shown]
	v_add_f64 v[90:91], v[26:27], -v[18:19]
	v_add_f64 v[26:27], v[10:11], -v[26:27]
	v_add_f64 v[18:19], v[18:19], -v[10:11]
	v_add_f64 v[10:11], v[2:3], v[10:11]
	v_add_f64 v[2:3], v[6:7], v[22:23]
	v_mov_b64_e32 v[92:93], v[0:1]
	v_mul_f64 v[4:5], v[84:85], s[20:21]
	v_mul_f64 v[6:7], v[86:87], s[20:21]
	;; [unrolled: 1-line block ×8, first 2 shown]
	v_fmac_f64_e32 v[92:93], s[22:23], v[20:21]
	v_mov_b64_e32 v[20:21], v[2:3]
	v_mul_f64 v[50:51], v[254:255], v[182:183]
	v_fmac_f64_e32 v[20:21], s[22:23], v[22:23]
	v_fma_f64 v[22:23], v[80:81], s[10:11], -v[54:55]
	v_fma_f64 v[54:55], v[82:83], s[10:11], -v[78:79]
	;; [unrolled: 1-line block ×3, first 2 shown]
	v_fmac_f64_e32 v[4:5], s[12:13], v[12:13]
	v_fma_f64 v[12:13], v[82:83], s[16:17], -v[6:7]
	v_fma_f64 v[80:81], v[16:17], s[0:1], -v[84:85]
	v_fmac_f64_e32 v[84:85], s[24:25], v[24:25]
	v_fma_f64 v[16:17], v[18:19], s[0:1], -v[86:87]
	v_fmac_f64_e32 v[86:87], s[24:25], v[26:27]
	v_fma_f64 v[24:25], v[24:25], s[26:27], -v[88:89]
	v_fma_f64 v[26:27], v[26:27], s[26:27], -v[90:91]
	v_fma_f64 v[116:117], v[252:253], v[180:181], -v[50:51]
	v_mul_f64 v[118:119], v[252:253], v[182:183]
	v_fmac_f64_e32 v[6:7], s[12:13], v[14:15]
	v_add_f64 v[82:83], v[4:5], v[92:93]
	v_add_f64 v[18:19], v[22:23], v[92:93]
	;; [unrolled: 1-line block ×5, first 2 shown]
	v_fmac_f64_e32 v[86:87], s[18:19], v[10:11]
	v_fmac_f64_e32 v[80:81], s[18:19], v[8:9]
	;; [unrolled: 1-line block ×7, first 2 shown]
	v_add_f64 v[88:89], v[6:7], v[20:21]
	v_fmac_f64_e32 v[84:85], s[18:19], v[8:9]
	v_add_f64 v[4:5], v[86:87], v[82:83]
	v_add_f64 v[8:9], v[26:27], v[54:55]
	v_add_f64 v[10:11], v[78:79], -v[24:25]
	v_add_f64 v[12:13], v[18:19], -v[16:17]
	v_add_f64 v[14:15], v[80:81], v[22:23]
	v_add_f64 v[16:17], v[16:17], v[18:19]
	v_add_f64 v[18:19], v[22:23], -v[80:81]
	v_add_f64 v[20:21], v[54:55], -v[26:27]
	v_add_f64 v[22:23], v[24:25], v[78:79]
	v_add_f64 v[24:25], v[82:83], -v[86:87]
	v_add_f64 v[54:55], v[28:29], v[116:117]
	v_add_f64 v[82:83], v[30:31], v[114:115]
	v_add_f64 v[6:7], v[88:89], -v[84:85]
	v_add_f64 v[26:27], v[84:85], v[88:89]
	v_add_f64 v[78:79], v[102:103], v[118:119]
	;; [unrolled: 1-line block ×3, first 2 shown]
	v_add_f64 v[30:31], v[30:31], -v[114:115]
	v_add_f64 v[86:87], v[74:75], v[112:113]
	v_add_f64 v[74:75], v[112:113], -v[74:75]
	v_add_f64 v[90:91], v[82:83], v[54:55]
	;; [unrolled: 2-line block ×3, first 2 shown]
	v_add_f64 v[92:93], v[84:85], v[78:79]
	v_add_f64 v[94:95], v[82:83], -v[54:55]
	v_add_f64 v[54:55], v[54:55], -v[86:87]
	;; [unrolled: 1-line block ×3, first 2 shown]
	v_add_f64 v[98:99], v[74:75], v[30:31]
	v_add_f64 v[86:87], v[86:87], v[90:91]
	v_add_f64 v[80:81], v[102:103], -v[118:119]
	v_add_f64 v[72:73], v[104:105], -v[72:73]
	;; [unrolled: 1-line block ×9, first 2 shown]
	v_add_f64 v[88:89], v[88:89], v[92:93]
	v_add_f64 v[90:91], v[98:99], v[28:29]
	v_add_f64 v[28:29], v[228:229], v[86:87]
	v_add_f64 v[100:101], v[76:77], v[72:73]
	v_add_f64 v[104:105], v[76:77], -v[72:73]
	v_add_f64 v[30:31], v[230:231], v[88:89]
	v_mov_b64_e32 v[114:115], v[28:29]
	v_add_f64 v[76:77], v[80:81], -v[76:77]
	v_add_f64 v[72:73], v[72:73], -v[80:81]
	v_add_f64 v[80:81], v[100:101], v[80:81]
	v_mul_f64 v[54:55], v[54:55], s[20:21]
	v_mul_f64 v[78:79], v[78:79], s[20:21]
	;; [unrolled: 1-line block ×7, first 2 shown]
	v_fmac_f64_e32 v[114:115], s[22:23], v[86:87]
	v_mov_b64_e32 v[86:87], v[30:31]
	v_mul_f64 v[112:113], v[72:73], s[0:1]
	v_fmac_f64_e32 v[86:87], s[22:23], v[88:89]
	v_fma_f64 v[88:89], v[94:95], s[10:11], -v[92:93]
	v_fma_f64 v[92:93], v[96:97], s[10:11], -v[98:99]
	;; [unrolled: 1-line block ×3, first 2 shown]
	v_fmac_f64_e32 v[54:55], s[12:13], v[82:83]
	v_fma_f64 v[82:83], v[96:97], s[16:17], -v[78:79]
	v_fmac_f64_e32 v[78:79], s[12:13], v[84:85]
	v_fma_f64 v[84:85], v[106:107], s[0:1], -v[100:101]
	;; [unrolled: 2-line block ×4, first 2 shown]
	v_mul_f64 v[42:43], v[232:233], v[122:123]
	v_mul_f64 v[46:47], v[236:237], v[126:127]
	v_fma_f64 v[76:77], v[76:77], s[26:27], -v[112:113]
	v_add_f64 v[54:55], v[54:55], v[114:115]
	v_add_f64 v[92:93], v[92:93], v[86:87]
	;; [unrolled: 1-line block ×3, first 2 shown]
	v_fmac_f64_e32 v[102:103], s[18:19], v[80:81]
	v_fmac_f64_e32 v[84:85], s[18:19], v[90:91]
	;; [unrolled: 1-line block ×6, first 2 shown]
	v_add_f64 v[78:79], v[78:79], v[86:87]
	v_add_f64 v[88:89], v[88:89], v[114:115]
	;; [unrolled: 1-line block ×3, first 2 shown]
	v_fmac_f64_e32 v[100:101], s[18:19], v[90:91]
	v_fmac_f64_e32 v[72:73], s[18:19], v[80:81]
	;; [unrolled: 1-line block ×3, first 2 shown]
	v_add_f64 v[228:229], v[102:103], v[54:55]
	v_add_f64 v[234:235], v[82:83], -v[74:75]
	v_add_f64 v[238:239], v[84:85], v[92:93]
	v_add_f64 v[252:253], v[92:93], -v[84:85]
	;; [unrolled: 2-line block ×3, first 2 shown]
	v_add_f64 v[54:55], v[58:59], v[246:247]
	v_add_f64 v[74:75], v[62:63], v[242:243]
	v_add_f64 v[230:231], v[78:79], -v[100:101]
	v_add_f64 v[232:233], v[76:77], v[94:95]
	v_add_f64 v[236:237], v[88:89], -v[72:73]
	;; [unrolled: 2-line block ×3, first 2 shown]
	v_add_f64 v[86:87], v[100:101], v[78:79]
	v_add_f64 v[72:73], v[60:61], v[248:249]
	;; [unrolled: 1-line block ×4, first 2 shown]
	v_add_f64 v[66:67], v[70:71], -v[66:67]
	v_add_f64 v[70:71], v[74:75], v[54:55]
	v_add_f64 v[62:63], v[62:63], -v[242:243]
	v_add_f64 v[64:65], v[64:65], -v[244:245]
	v_add_f64 v[88:89], v[68:69], v[240:241]
	v_add_f64 v[68:69], v[240:241], -v[68:69]
	v_add_f64 v[90:91], v[76:77], v[72:73]
	v_add_f64 v[70:71], v[78:79], v[70:71]
	v_add_f64 v[92:93], v[74:75], -v[54:55]
	v_add_f64 v[54:55], v[54:55], -v[78:79]
	;; [unrolled: 1-line block ×5, first 2 shown]
	v_add_f64 v[78:79], v[88:89], v[90:91]
	v_add_f64 v[224:225], v[224:225], v[70:71]
	v_add_f64 v[58:59], v[58:59], -v[246:247]
	v_add_f64 v[60:61], v[60:61], -v[248:249]
	v_add_f64 v[94:95], v[76:77], -v[72:73]
	v_add_f64 v[76:77], v[88:89], -v[76:77]
	v_add_f64 v[226:227], v[226:227], v[78:79]
	v_mul_f64 v[104:105], v[100:101], s[14:15]
	v_mul_f64 v[100:101], v[102:103], s[14:15]
	v_mov_b64_e32 v[102:103], v[224:225]
	v_add_f64 v[72:73], v[72:73], -v[88:89]
	v_add_f64 v[96:97], v[66:67], v[62:63]
	v_add_f64 v[98:99], v[68:69], v[64:65]
	v_add_f64 v[68:69], v[60:61], -v[68:69]
	v_add_f64 v[62:63], v[62:63], -v[58:59]
	;; [unrolled: 1-line block ×3, first 2 shown]
	v_mul_f64 v[54:55], v[54:55], s[20:21]
	v_mul_f64 v[88:89], v[74:75], s[12:13]
	;; [unrolled: 1-line block ×3, first 2 shown]
	v_fmac_f64_e32 v[102:103], s[22:23], v[70:71]
	v_mov_b64_e32 v[70:71], v[226:227]
	v_mul_f64 v[38:39], v[220:221], v[130:131]
	v_mul_f64 v[50:51], v[212:213], v[142:143]
	v_add_f64 v[66:67], v[58:59], -v[66:67]
	v_add_f64 v[58:59], v[96:97], v[58:59]
	v_add_f64 v[60:61], v[98:99], v[60:61]
	v_mul_f64 v[72:73], v[72:73], s[20:21]
	v_mul_f64 v[96:97], v[62:63], s[0:1]
	;; [unrolled: 1-line block ×3, first 2 shown]
	v_fmac_f64_e32 v[70:71], s[22:23], v[78:79]
	v_fma_f64 v[78:79], v[92:93], s[10:11], -v[88:89]
	v_fma_f64 v[88:89], v[94:95], s[10:11], -v[90:91]
	;; [unrolled: 1-line block ×3, first 2 shown]
	v_fmac_f64_e32 v[54:55], s[12:13], v[74:75]
	v_fma_f64 v[62:63], v[62:63], s[0:1], -v[104:105]
	v_fma_f64 v[64:65], v[64:65], s[0:1], -v[100:101]
	v_fmac_f64_e32 v[100:101], s[24:25], v[68:69]
	v_fmac_f64_e32 v[38:39], v[222:223], v[128:129]
	;; [unrolled: 1-line block ×3, first 2 shown]
	v_fma_f64 v[74:75], v[94:95], s[16:17], -v[72:73]
	v_fmac_f64_e32 v[72:73], s[12:13], v[76:77]
	v_fmac_f64_e32 v[104:105], s[24:25], v[66:67]
	v_fma_f64 v[66:67], v[66:67], s[26:27], -v[96:97]
	v_fma_f64 v[68:69], v[68:69], s[26:27], -v[98:99]
	v_add_f64 v[54:55], v[54:55], v[102:103]
	v_add_f64 v[76:77], v[78:79], v[102:103]
	;; [unrolled: 1-line block ×3, first 2 shown]
	v_fmac_f64_e32 v[100:101], s[18:19], v[60:61]
	v_fmac_f64_e32 v[62:63], s[18:19], v[58:59]
	v_add_f64 v[96:97], v[90:91], v[102:103]
	v_fmac_f64_e32 v[104:105], s[18:19], v[58:59]
	v_fmac_f64_e32 v[64:65], s[18:19], v[60:61]
	;; [unrolled: 1-line block ×4, first 2 shown]
	v_add_f64 v[240:241], v[100:101], v[54:55]
	v_add_f64 v[90:91], v[62:63], v[78:79]
	v_add_f64 v[94:95], v[78:79], -v[62:63]
	v_add_f64 v[100:101], v[54:55], -v[100:101]
	v_add_f64 v[54:55], v[32:33], v[56:57]
	v_add_f64 v[58:59], v[34:35], v[52:53]
	v_add_f64 v[62:63], v[32:33], -v[56:57]
	v_add_f64 v[56:57], v[36:37], v[48:49]
	v_add_f64 v[60:61], v[38:39], v[50:51]
	v_add_f64 v[72:73], v[72:73], v[70:71]
	v_add_f64 v[70:71], v[74:75], v[70:71]
	v_add_f64 v[88:89], v[76:77], -v[64:65]
	v_add_f64 v[92:93], v[64:65], v[76:77]
	v_add_f64 v[52:53], v[34:35], -v[52:53]
	v_add_f64 v[64:65], v[36:37], -v[48:49]
	;; [unrolled: 1-line block ×3, first 2 shown]
	v_add_f64 v[32:33], v[40:41], v[44:45]
	v_add_f64 v[34:35], v[42:43], v[46:47]
	v_add_f64 v[36:37], v[44:45], -v[40:41]
	v_add_f64 v[38:39], v[46:47], -v[42:43]
	v_add_f64 v[40:41], v[56:57], v[54:55]
	v_add_f64 v[42:43], v[60:61], v[58:59]
	v_add_f64 v[246:247], v[70:71], -v[66:67]
	v_add_f64 v[98:99], v[66:67], v[70:71]
	v_add_f64 v[44:45], v[54:55], -v[32:33]
	v_add_f64 v[46:47], v[58:59], -v[34:35]
	v_add_f64 v[50:51], v[36:37], v[64:65]
	v_add_f64 v[66:67], v[38:39], v[48:49]
	v_add_f64 v[76:77], v[36:37], -v[64:65]
	v_add_f64 v[78:79], v[38:39], -v[48:49]
	;; [unrolled: 1-line block ×4, first 2 shown]
	v_add_f64 v[40:41], v[32:33], v[40:41]
	v_add_f64 v[42:43], v[34:35], v[42:43]
	;; [unrolled: 1-line block ×3, first 2 shown]
	v_add_f64 v[96:97], v[96:97], -v[68:69]
	v_add_f64 v[68:69], v[32:33], -v[56:57]
	v_add_f64 v[70:71], v[34:35], -v[60:61]
	v_add_f64 v[220:221], v[50:51], v[62:63]
	v_add_f64 v[222:223], v[66:67], v[52:53]
	;; [unrolled: 1-line block ×4, first 2 shown]
	v_mul_f64 v[50:51], v[44:45], s[20:21]
	v_mul_f64 v[212:213], v[46:47], s[20:21]
	;; [unrolled: 1-line block ×4, first 2 shown]
	v_fma_f64 v[44:45], s[22:23], v[40:41], v[32:33]
	v_fma_f64 v[46:47], s[22:23], v[42:43], v[34:35]
	;; [unrolled: 1-line block ×6, first 2 shown]
	v_add_f64 v[38:39], v[38:39], v[44:45]
	v_add_f64 v[42:43], v[42:43], v[46:47]
	v_fmac_f64_e32 v[40:41], s[18:19], v[220:221]
	v_fmac_f64_e32 v[36:37], s[18:19], v[222:223]
	scratch_store_dwordx4 off, v[132:135], off offset:796 ; 16-byte Folded Spill
	scratch_store_dwordx4 off, v[136:139], off offset:812 ; 16-byte Folded Spill
	;; [unrolled: 1-line block ×3, first 2 shown]
	v_add_f64 v[134:135], v[38:39], -v[36:37]
	v_add_f64 v[136:137], v[40:41], v[42:43]
	scratch_store_dwordx4 off, v[120:123], off offset:764 ; 16-byte Folded Spill
	scratch_store_dwordx4 off, v[124:127], off offset:748 ; 16-byte Folded Spill
	scratch_store_dwordx4 off, v[140:143], off offset:828 ; 16-byte Folded Spill
	v_add_f64 v[242:243], v[72:73], -v[104:105]
	v_add_f64 v[102:103], v[104:105], v[72:73]
	ds_write_b128 v108, v[0:3]
	ds_write_b128 v108, v[4:7] offset:3888
	ds_write_b128 v108, v[8:11] offset:7776
	;; [unrolled: 1-line block ×20, first 2 shown]
	s_and_saveexec_b64 s[20:21], vcc
	s_cbranch_execz .LBB0_5
; %bb.4:
	v_mul_f64 v[4:5], v[68:69], s[12:13]
	v_mul_f64 v[6:7], v[70:71], s[12:13]
	v_add_f64 v[16:17], v[64:65], -v[62:63]
	s_mov_b32 s13, 0xbfebfeb5
	s_mov_b32 s12, s0
	v_mul_f64 v[8:9], v[220:221], s[18:19]
	v_fma_f64 v[0:1], v[16:17], s[12:13], -v[214:215]
	v_add_f64 v[20:21], v[60:61], -v[58:59]
	v_add_f64 v[18:19], v[8:9], v[0:1]
	v_fma_f64 v[0:1], v[20:21], s[16:17], -v[212:213]
	v_add_f64 v[24:25], v[56:57], -v[54:55]
	v_mul_f64 v[12:13], v[76:77], s[14:15]
	v_mul_f64 v[14:15], v[78:79], s[14:15]
	v_add_f64 v[22:23], v[0:1], v[46:47]
	v_fma_f64 v[0:1], v[24:25], s[16:17], -v[50:51]
	v_add_f64 v[28:29], v[48:49], -v[52:53]
	v_fma_f64 v[6:7], v[20:21], s[10:11], -v[6:7]
	v_fma_f64 v[4:5], v[24:25], s[10:11], -v[4:5]
	v_mul_f64 v[10:11], v[222:223], s[18:19]
	v_add_f64 v[26:27], v[0:1], v[44:45]
	v_fma_f64 v[0:1], v[28:29], s[12:13], -v[66:67]
	v_add_f64 v[20:21], v[6:7], v[46:47]
	v_fma_f64 v[6:7], v[16:17], s[0:1], -v[12:13]
	;; [unrolled: 2-line block ×3, first 2 shown]
	v_add_f64 v[30:31], v[10:11], v[0:1]
	v_add_f64 v[8:9], v[8:9], v[6:7]
	;; [unrolled: 1-line block ×4, first 2 shown]
	v_add_f64 v[0:1], v[26:27], -v[30:31]
	v_add_f64 v[6:7], v[20:21], -v[8:9]
	v_add_f64 v[4:5], v[14:15], v[12:13]
	v_add_f64 v[10:11], v[8:9], v[20:21]
	v_add_f64 v[8:9], v[12:13], -v[14:15]
	v_add_f64 v[14:15], v[22:23], -v[18:19]
	v_add_f64 v[12:13], v[30:31], v[26:27]
	v_add_f64 v[18:19], v[42:43], -v[40:41]
	v_add_f64 v[16:17], v[36:37], v[38:39]
	ds_write_b128 v108, v[32:35] offset:3024
	ds_write_b128 v108, v[16:19] offset:6912
	;; [unrolled: 1-line block ×7, first 2 shown]
.LBB0_5:
	s_or_b64 exec, exec, s[20:21]
	v_lshlrev_b32_e32 v0, 4, v110
	v_mov_b32_e32 v1, 0
	v_lshl_add_u64 v[4:5], s[8:9], 0, v[0:1]
	s_mov_b64 s[0:1], 0x6a50
	v_lshl_add_u64 v[16:17], v[4:5], 0, s[0:1]
	s_movk_i32 s0, 0x6000
	v_add_co_u32_e64 v6, s[0:1], s0, v4
	s_waitcnt lgkmcnt(0)
	s_nop 0
	v_addc_co_u32_e64 v7, s[0:1], 0, v5, s[0:1]
	; wave barrier
	global_load_dwordx4 v[6:9], v[6:7], off offset:2640
	ds_read_b128 v[0:3], v108
	ds_read_b128 v[212:215], v108 offset:6048
	s_mov_b32 s0, 0x8000
	s_mov_b32 s9, 0x3febb67a
	v_accvgpr_read_b32 v77, a31
	v_accvgpr_read_b32 v76, a30
	;; [unrolled: 1-line block ×4, first 2 shown]
	s_waitcnt vmcnt(0) lgkmcnt(1)
	v_mul_f64 v[10:11], v[2:3], v[8:9]
	v_mul_f64 v[12:13], v[0:1], v[8:9]
	v_fma_f64 v[10:11], v[0:1], v[6:7], -v[10:11]
	v_fmac_f64_e32 v[12:13], v[2:3], v[6:7]
	v_add_co_u32_e64 v6, s[0:1], s0, v4
	ds_write_b128 v108, v[10:13]
	s_nop 0
	v_addc_co_u32_e64 v7, s[0:1], 0, v5, s[0:1]
	global_load_dwordx4 v[8:11], v[6:7], off offset:3520
	ds_read_b128 v[0:3], v108 offset:9072
	s_mov_b32 s0, 0xb000
	v_add_co_u32_e64 v18, s[0:1], s0, v4
	s_waitcnt vmcnt(0) lgkmcnt(0)
	v_mul_f64 v[12:13], v[2:3], v[10:11]
	v_mul_f64 v[14:15], v[0:1], v[10:11]
	v_addc_co_u32_e64 v19, s[0:1], 0, v5, s[0:1]
	v_fma_f64 v[12:13], v[0:1], v[8:9], -v[12:13]
	v_fmac_f64_e32 v[14:15], v[2:3], v[8:9]
	global_load_dwordx4 v[8:11], v[18:19], off offset:304
	ds_read_b128 v[0:3], v108 offset:18144
	ds_write_b128 v108, v[12:15] offset:9072
	s_mov_b32 s0, 0x9000
	v_add_co_u32_e64 v20, s[0:1], s0, v4
	s_waitcnt vmcnt(0) lgkmcnt(1)
	v_mul_f64 v[12:13], v[2:3], v[10:11]
	v_mul_f64 v[14:15], v[0:1], v[10:11]
	v_fma_f64 v[12:13], v[0:1], v[8:9], -v[12:13]
	v_fmac_f64_e32 v[14:15], v[2:3], v[8:9]
	global_load_dwordx4 v[8:11], v[16:17], off offset:1008
	ds_read_b128 v[0:3], v108 offset:1008
	ds_write_b128 v108, v[12:15] offset:18144
	v_addc_co_u32_e64 v21, s[0:1], 0, v5, s[0:1]
	s_mov_b32 s0, 0xc000
	s_waitcnt vmcnt(0) lgkmcnt(1)
	v_mul_f64 v[12:13], v[2:3], v[10:11]
	v_mul_f64 v[14:15], v[0:1], v[10:11]
	v_fma_f64 v[12:13], v[0:1], v[8:9], -v[12:13]
	v_fmac_f64_e32 v[14:15], v[2:3], v[8:9]
	global_load_dwordx4 v[8:11], v[20:21], off offset:432
	ds_read_b128 v[0:3], v108 offset:10080
	ds_write_b128 v108, v[12:15] offset:1008
	s_waitcnt vmcnt(0) lgkmcnt(1)
	v_mul_f64 v[12:13], v[2:3], v[10:11]
	v_mul_f64 v[14:15], v[0:1], v[10:11]
	v_fma_f64 v[12:13], v[0:1], v[8:9], -v[12:13]
	v_fmac_f64_e32 v[14:15], v[2:3], v[8:9]
	global_load_dwordx4 v[8:11], v[18:19], off offset:1312
	ds_read_b128 v[0:3], v108 offset:19152
	ds_write_b128 v108, v[12:15] offset:10080
	;; [unrolled: 8-line block ×10, first 2 shown]
	s_waitcnt vmcnt(0) lgkmcnt(1)
	v_mul_f64 v[12:13], v[2:3], v[10:11]
	v_fma_f64 v[12:13], v[0:1], v[8:9], -v[12:13]
	v_mul_f64 v[14:15], v[0:1], v[10:11]
	v_add_co_u32_e64 v0, s[0:1], s0, v4
	v_fmac_f64_e32 v[14:15], v[2:3], v[8:9]
	s_nop 0
	v_addc_co_u32_e64 v1, s[0:1], 0, v5, s[0:1]
	ds_write_b128 v108, v[12:15] offset:13104
	global_load_dwordx4 v[12:15], v[0:1], off offset:240
	ds_read_b128 v[8:11], v108 offset:22176
	s_movk_i32 s0, 0x7000
	s_waitcnt vmcnt(0) lgkmcnt(0)
	v_mul_f64 v[2:3], v[10:11], v[14:15]
	v_fma_f64 v[16:17], v[8:9], v[12:13], -v[2:3]
	v_add_co_u32_e64 v2, s[0:1], s0, v4
	v_mul_f64 v[18:19], v[8:9], v[14:15]
	s_nop 0
	v_addc_co_u32_e64 v3, s[0:1], 0, v5, s[0:1]
	v_fmac_f64_e32 v[18:19], v[10:11], v[12:13]
	global_load_dwordx4 v[12:15], v[2:3], off offset:3584
	ds_read_b128 v[8:11], v108 offset:5040
	s_mov_b32 s0, 0xa000
	ds_write_b128 v108, v[16:19] offset:22176
	s_waitcnt vmcnt(0) lgkmcnt(1)
	v_mul_f64 v[2:3], v[10:11], v[14:15]
	v_fma_f64 v[16:17], v[8:9], v[12:13], -v[2:3]
	v_mul_f64 v[18:19], v[8:9], v[14:15]
	v_add_co_u32_e64 v8, s[0:1], s0, v4
	v_fmac_f64_e32 v[18:19], v[10:11], v[12:13]
	s_nop 0
	v_addc_co_u32_e64 v9, s[0:1], 0, v5, s[0:1]
	ds_write_b128 v108, v[16:19] offset:5040
	global_load_dwordx4 v[14:17], v[8:9], off offset:368
	ds_read_b128 v[10:13], v108 offset:14112
	s_mov_b32 s0, 0xd000
	v_add_co_u32_e64 v4, s[0:1], s0, v4
	s_waitcnt vmcnt(0) lgkmcnt(0)
	v_mul_f64 v[2:3], v[12:13], v[16:17]
	v_mul_f64 v[20:21], v[10:11], v[16:17]
	v_fma_f64 v[18:19], v[10:11], v[14:15], -v[2:3]
	v_fmac_f64_e32 v[20:21], v[12:13], v[14:15]
	global_load_dwordx4 v[14:17], v[0:1], off offset:1248
	ds_read_b128 v[10:13], v108 offset:23184
	ds_write_b128 v108, v[18:21] offset:14112
	v_addc_co_u32_e64 v5, s[0:1], 0, v5, s[0:1]
	s_mov_b32 s0, 0xe8584caa
	s_mov_b32 s1, 0xbfebb67a
	;; [unrolled: 1-line block ×3, first 2 shown]
	s_waitcnt vmcnt(0) lgkmcnt(1)
	v_mul_f64 v[2:3], v[12:13], v[16:17]
	v_mul_f64 v[20:21], v[10:11], v[16:17]
	v_fma_f64 v[18:19], v[10:11], v[14:15], -v[2:3]
	v_fmac_f64_e32 v[20:21], v[12:13], v[14:15]
	global_load_dwordx4 v[10:13], v[6:7], off offset:496
	ds_write_b128 v108, v[18:21] offset:23184
	s_waitcnt vmcnt(0)
	v_mul_f64 v[2:3], v[214:215], v[12:13]
	v_mul_f64 v[16:17], v[212:213], v[12:13]
	v_fma_f64 v[14:15], v[212:213], v[10:11], -v[2:3]
	v_fmac_f64_e32 v[16:17], v[214:215], v[10:11]
	ds_write_b128 v108, v[14:17] offset:6048
	global_load_dwordx4 v[14:17], v[8:9], off offset:1376
	ds_read_b128 v[10:13], v108 offset:15120
	s_waitcnt vmcnt(0) lgkmcnt(0)
	v_mul_f64 v[2:3], v[12:13], v[16:17]
	v_mul_f64 v[20:21], v[10:11], v[16:17]
	v_fma_f64 v[18:19], v[10:11], v[14:15], -v[2:3]
	v_fmac_f64_e32 v[20:21], v[12:13], v[14:15]
	global_load_dwordx4 v[14:17], v[0:1], off offset:2256
	ds_read_b128 v[10:13], v108 offset:24192
	ds_write_b128 v108, v[18:21] offset:15120
	s_waitcnt vmcnt(0) lgkmcnt(1)
	v_mul_f64 v[2:3], v[12:13], v[16:17]
	v_mul_f64 v[20:21], v[10:11], v[16:17]
	v_fma_f64 v[18:19], v[10:11], v[14:15], -v[2:3]
	v_fmac_f64_e32 v[20:21], v[12:13], v[14:15]
	global_load_dwordx4 v[14:17], v[6:7], off offset:1504
	ds_read_b128 v[10:13], v108 offset:7056
	ds_write_b128 v108, v[18:21] offset:24192
	;; [unrolled: 8-line block ×3, first 2 shown]
	s_waitcnt vmcnt(0) lgkmcnt(1)
	v_mul_f64 v[2:3], v[12:13], v[16:17]
	v_fma_f64 v[18:19], v[10:11], v[14:15], -v[2:3]
	global_load_dwordx4 v[0:3], v[0:1], off offset:3264
	v_mul_f64 v[20:21], v[10:11], v[16:17]
	v_fmac_f64_e32 v[20:21], v[12:13], v[14:15]
	ds_read_b128 v[10:13], v108 offset:25200
	ds_write_b128 v108, v[18:21] offset:16128
	s_waitcnt vmcnt(0) lgkmcnt(1)
	v_mul_f64 v[14:15], v[12:13], v[2:3]
	v_mul_f64 v[16:17], v[10:11], v[2:3]
	v_fma_f64 v[14:15], v[10:11], v[0:1], -v[14:15]
	v_fmac_f64_e32 v[16:17], v[12:13], v[0:1]
	global_load_dwordx4 v[10:13], v[6:7], off offset:2512
	ds_read_b128 v[0:3], v108 offset:8064
	ds_write_b128 v108, v[14:17] offset:25200
	s_waitcnt vmcnt(0) lgkmcnt(1)
	v_mul_f64 v[6:7], v[2:3], v[12:13]
	v_fma_f64 v[14:15], v[0:1], v[10:11], -v[6:7]
	global_load_dwordx4 v[6:9], v[8:9], off offset:3392
	v_mul_f64 v[16:17], v[0:1], v[12:13]
	v_fmac_f64_e32 v[16:17], v[2:3], v[10:11]
	ds_read_b128 v[0:3], v108 offset:17136
	ds_write_b128 v108, v[14:17] offset:8064
	s_waitcnt vmcnt(0) lgkmcnt(1)
	v_mul_f64 v[10:11], v[2:3], v[8:9]
	v_mul_f64 v[12:13], v[0:1], v[8:9]
	v_fma_f64 v[10:11], v[0:1], v[6:7], -v[10:11]
	v_fmac_f64_e32 v[12:13], v[2:3], v[6:7]
	global_load_dwordx4 v[4:7], v[4:5], off offset:176
	ds_read_b128 v[0:3], v108 offset:26208
	ds_write_b128 v108, v[10:13] offset:17136
	s_waitcnt vmcnt(0) lgkmcnt(1)
	v_mul_f64 v[8:9], v[2:3], v[6:7]
	v_mul_f64 v[10:11], v[0:1], v[6:7]
	v_fma_f64 v[8:9], v[0:1], v[4:5], -v[8:9]
	v_fmac_f64_e32 v[10:11], v[2:3], v[4:5]
	ds_write_b128 v108, v[8:11] offset:26208
	s_waitcnt lgkmcnt(0)
	; wave barrier
	s_waitcnt lgkmcnt(0)
	ds_read_b128 v[244:247], v108
	ds_read_b128 v[40:43], v108 offset:9072
	ds_read_b128 v[44:47], v108 offset:18144
	;; [unrolled: 1-line block ×26, first 2 shown]
	s_waitcnt lgkmcnt(14)
	v_add_f64 v[24:25], v[244:245], v[40:41]
	v_add_f64 v[36:37], v[24:25], v[44:45]
	v_add_f64 v[24:25], v[40:41], v[44:45]
	v_fmac_f64_e32 v[244:245], -0.5, v[24:25]
	v_add_f64 v[26:27], v[42:43], -v[46:47]
	v_fma_f64 v[24:25], s[0:1], v[26:27], v[244:245]
	v_fmac_f64_e32 v[244:245], s[8:9], v[26:27]
	v_add_f64 v[26:27], v[246:247], v[42:43]
	v_add_f64 v[38:39], v[26:27], v[46:47]
	v_add_f64 v[26:27], v[42:43], v[46:47]
	v_fmac_f64_e32 v[246:247], -0.5, v[26:27]
	v_add_f64 v[40:41], v[40:41], -v[44:45]
	v_fma_f64 v[26:27], s[8:9], v[40:41], v[246:247]
	v_fmac_f64_e32 v[246:247], s[0:1], v[40:41]
	;; [unrolled: 7-line block ×7, first 2 shown]
	v_add_f64 v[66:67], v[234:235], v[50:51]
	v_add_f64 v[50:51], v[50:51], v[54:55]
	v_fmac_f64_e32 v[234:235], -0.5, v[50:51]
	v_add_f64 v[48:49], v[48:49], -v[52:53]
	v_add_f64 v[70:71], v[66:67], v[54:55]
	v_fma_f64 v[66:67], s[8:9], v[48:49], v[234:235]
	v_fmac_f64_e32 v[234:235], s[0:1], v[48:49]
	s_waitcnt lgkmcnt(13)
	v_add_f64 v[48:49], v[228:229], v[28:29]
	s_waitcnt lgkmcnt(12)
	v_add_f64 v[52:53], v[48:49], v[32:33]
	v_add_f64 v[48:49], v[28:29], v[32:33]
	v_fmac_f64_e32 v[228:229], -0.5, v[48:49]
	v_add_f64 v[50:51], v[30:31], -v[34:35]
	v_fma_f64 v[48:49], s[0:1], v[50:51], v[228:229]
	v_fmac_f64_e32 v[228:229], s[8:9], v[50:51]
	v_add_f64 v[50:51], v[230:231], v[30:31]
	v_add_f64 v[30:31], v[30:31], v[34:35]
	v_fmac_f64_e32 v[230:231], -0.5, v[30:31]
	v_add_f64 v[28:29], v[28:29], -v[32:33]
	v_add_f64 v[54:55], v[50:51], v[34:35]
	v_fma_f64 v[50:51], s[8:9], v[28:29], v[230:231]
	v_fmac_f64_e32 v[230:231], s[0:1], v[28:29]
	s_waitcnt lgkmcnt(10)
	v_add_f64 v[28:29], v[224:225], v[16:17]
	s_waitcnt lgkmcnt(9)
	v_add_f64 v[32:33], v[28:29], v[20:21]
	v_add_f64 v[28:29], v[16:17], v[20:21]
	v_fmac_f64_e32 v[224:225], -0.5, v[28:29]
	v_add_f64 v[30:31], v[18:19], -v[22:23]
	v_fma_f64 v[28:29], s[0:1], v[30:31], v[224:225]
	v_fmac_f64_e32 v[224:225], s[8:9], v[30:31]
	;; [unrolled: 16-line block ×5, first 2 shown]
	v_add_f64 v[2:3], v[214:215], v[250:251]
	v_add_f64 v[6:7], v[2:3], v[254:255]
	;; [unrolled: 1-line block ×3, first 2 shown]
	v_fmac_f64_e32 v[214:215], -0.5, v[2:3]
	v_add_f64 v[72:73], v[248:249], -v[252:253]
	v_fma_f64 v[2:3], s[8:9], v[72:73], v[214:215]
	v_fmac_f64_e32 v[214:215], s[0:1], v[72:73]
	s_waitcnt lgkmcnt(0)
	; wave barrier
	scratch_load_dword v72, off, off offset:396 ; 4-byte Folded Reload
	s_waitcnt vmcnt(0)
	ds_write_b128 v72, v[36:39]
	ds_write_b128 v72, v[24:27] offset:16
	ds_write_b128 v72, v[244:247] offset:32
	scratch_load_dword v24, off, off offset:392 ; 4-byte Folded Reload
	s_waitcnt vmcnt(0)
	ds_write_b128 v24, v[44:47]
	ds_write_b128 v24, v[40:43] offset:16
	ds_write_b128 v24, v[240:243] offset:32
	;; [unrolled: 5-line block ×9, first 2 shown]
	s_waitcnt lgkmcnt(0)
	; wave barrier
	s_waitcnt lgkmcnt(0)
	ds_read_b128 v[244:247], v108
	ds_read_b128 v[68:71], v108 offset:9072
	ds_read_b128 v[64:67], v108 offset:18144
	;; [unrolled: 1-line block ×26, first 2 shown]
	s_waitcnt lgkmcnt(14)
	v_mul_f64 v[72:73], v[76:77], v[70:71]
	v_fmac_f64_e32 v[72:73], v[74:75], v[68:69]
	v_mul_f64 v[68:69], v[76:77], v[68:69]
	v_fma_f64 v[68:69], v[74:75], v[70:71], -v[68:69]
	v_accvgpr_read_b32 v77, a35
	v_accvgpr_read_b32 v76, a34
	v_accvgpr_read_b32 v75, a33
	v_accvgpr_read_b32 v74, a32
	v_mul_f64 v[70:71], v[76:77], v[66:67]
	v_fmac_f64_e32 v[70:71], v[74:75], v[64:65]
	v_mul_f64 v[64:65], v[76:77], v[64:65]
	v_accvgpr_read_b32 v79, a27
	v_accvgpr_read_b32 v78, a26
	v_fma_f64 v[64:65], v[74:75], v[66:67], -v[64:65]
	v_accvgpr_read_b32 v77, a25
	v_accvgpr_read_b32 v76, a24
	v_mul_f64 v[74:75], v[78:79], v[62:63]
	v_fmac_f64_e32 v[74:75], v[76:77], v[60:61]
	v_mul_f64 v[60:61], v[78:79], v[60:61]
	v_fma_f64 v[76:77], v[76:77], v[62:63], -v[60:61]
	v_accvgpr_read_b32 v63, a57
	v_accvgpr_read_b32 v62, a56
	v_accvgpr_read_b32 v61, a55
	v_accvgpr_read_b32 v60, a54
	v_mul_f64 v[78:79], v[62:63], v[58:59]
	v_fmac_f64_e32 v[78:79], v[60:61], v[56:57]
	v_mul_f64 v[56:57], v[62:63], v[56:57]
	v_fma_f64 v[58:59], v[60:61], v[58:59], -v[56:57]
	v_accvgpr_read_b32 v63, a51
	v_accvgpr_read_b32 v62, a50
	;; [unrolled: 8-line block ×6, first 2 shown]
	v_accvgpr_read_b32 v47, a65
	v_accvgpr_read_b32 v45, a63
	s_waitcnt lgkmcnt(13)
	v_mul_f64 v[92:93], v[46:47], v[38:39]
	v_fmac_f64_e32 v[92:93], v[44:45], v[36:37]
	v_mul_f64 v[36:37], v[46:47], v[36:37]
	v_fma_f64 v[94:95], v[44:45], v[38:39], -v[36:37]
	v_accvgpr_read_b32 v36, a58
	v_accvgpr_read_b32 v38, a60
	v_accvgpr_read_b32 v39, a61
	v_accvgpr_read_b32 v37, a59
	s_waitcnt lgkmcnt(12)
	v_mul_f64 v[96:97], v[38:39], v[34:35]
	v_fmac_f64_e32 v[96:97], v[36:37], v[32:33]
	v_mul_f64 v[32:33], v[38:39], v[32:33]
	v_fma_f64 v[34:35], v[36:37], v[34:35], -v[32:33]
	v_accvgpr_read_b32 v39, a11
	v_accvgpr_read_b32 v38, a10
	;; [unrolled: 9-line block ×8, first 2 shown]
	v_accvgpr_read_b32 v23, a93
	v_accvgpr_read_b32 v21, a91
	s_waitcnt lgkmcnt(1)
	v_mul_f64 v[2:3], v[22:23], v[18:19]
	v_mul_f64 v[14:15], v[22:23], v[16:17]
	v_fmac_f64_e32 v[2:3], v[20:21], v[16:17]
	v_fma_f64 v[116:117], v[20:21], v[18:19], -v[14:15]
	v_accvgpr_read_b32 v14, a82
	v_accvgpr_read_b32 v16, a84
	;; [unrolled: 1-line block ×4, first 2 shown]
	s_waitcnt lgkmcnt(0)
	v_mul_f64 v[118:119], v[16:17], v[10:11]
	v_fmac_f64_e32 v[118:119], v[14:15], v[8:9]
	v_mul_f64 v[8:9], v[16:17], v[8:9]
	v_fma_f64 v[252:253], v[14:15], v[10:11], -v[8:9]
	v_add_f64 v[8:9], v[244:245], v[72:73]
	v_add_f64 v[248:249], v[8:9], v[70:71]
	v_add_f64 v[8:9], v[72:73], v[70:71]
	v_fmac_f64_e32 v[244:245], -0.5, v[8:9]
	v_add_f64 v[8:9], v[68:69], -v[64:65]
	v_fma_f64 v[60:61], s[0:1], v[8:9], v[244:245]
	v_fmac_f64_e32 v[244:245], s[8:9], v[8:9]
	v_add_f64 v[8:9], v[246:247], v[68:69]
	v_add_f64 v[250:251], v[8:9], v[64:65]
	v_add_f64 v[8:9], v[68:69], v[64:65]
	v_fmac_f64_e32 v[246:247], -0.5, v[8:9]
	v_add_f64 v[8:9], v[72:73], -v[70:71]
	v_fma_f64 v[62:63], s[8:9], v[8:9], v[246:247]
	v_fmac_f64_e32 v[246:247], s[0:1], v[8:9]
	;; [unrolled: 7-line block ×16, first 2 shown]
	v_add_f64 v[0:1], v[212:213], v[2:3]
	v_add_f64 v[4:5], v[0:1], v[118:119]
	;; [unrolled: 1-line block ×3, first 2 shown]
	v_fmac_f64_e32 v[212:213], -0.5, v[0:1]
	v_add_f64 v[6:7], v[116:117], -v[252:253]
	v_add_f64 v[68:69], v[116:117], v[252:253]
	v_fma_f64 v[0:1], s[0:1], v[6:7], v[212:213]
	v_fmac_f64_e32 v[212:213], s[8:9], v[6:7]
	v_add_f64 v[6:7], v[214:215], v[116:117]
	v_fmac_f64_e32 v[214:215], -0.5, v[68:69]
	v_add_f64 v[68:69], v[2:3], -v[118:119]
	v_fma_f64 v[2:3], s[8:9], v[68:69], v[214:215]
	v_fmac_f64_e32 v[214:215], s[0:1], v[68:69]
	s_waitcnt lgkmcnt(0)
	; wave barrier
	scratch_load_dword v68, off, off offset:648 ; 4-byte Folded Reload
	s_waitcnt vmcnt(0)
	ds_write_b128 v68, v[248:251]
	ds_write_b128 v68, v[60:63] offset:48
	ds_write_b128 v68, v[244:247] offset:96
	scratch_load_dword v60, off, off offset:248 ; 4-byte Folded Reload
	s_waitcnt vmcnt(0)
	ds_write_b128 v60, v[64:67]
	ds_write_b128 v60, v[56:59] offset:48
	ds_write_b128 v60, v[240:243] offset:96
	;; [unrolled: 5-line block ×8, first 2 shown]
	scratch_load_dword v8, off, off offset:652 ; 4-byte Folded Reload
	v_accvgpr_read_b32 v76, a202
	v_add_f64 v[6:7], v[6:7], v[252:253]
	v_accvgpr_read_b32 v78, a204
	v_accvgpr_read_b32 v79, a205
	;; [unrolled: 1-line block ×3, first 2 shown]
	s_waitcnt vmcnt(0)
	ds_write_b128 v8, v[4:7]
	ds_write_b128 v8, v[0:3] offset:48
	ds_write_b128 v8, v[212:215] offset:96
	s_waitcnt lgkmcnt(0)
	; wave barrier
	s_waitcnt lgkmcnt(0)
	ds_read_b128 v[32:35], v108
	ds_read_b128 v[244:247], v108 offset:9072
	ds_read_b128 v[240:243], v108 offset:18144
	;; [unrolled: 1-line block ×26, first 2 shown]
	v_accvgpr_read_b32 v77, a203
	s_waitcnt lgkmcnt(14)
	v_mul_f64 v[72:73], v[78:79], v[246:247]
	v_mul_f64 v[74:75], v[78:79], v[244:245]
	v_accvgpr_read_b32 v82, a192
	v_accvgpr_read_b32 v83, a193
	v_accvgpr_read_b32 v84, a198
	v_fmac_f64_e32 v[72:73], v[76:77], v[244:245]
	v_fma_f64 v[74:75], v[76:77], v[246:247], -v[74:75]
	v_accvgpr_read_b32 v81, a191
	v_mul_f64 v[76:77], v[82:83], v[242:243]
	v_mul_f64 v[78:79], v[82:83], v[240:241]
	v_accvgpr_read_b32 v86, a200
	v_accvgpr_read_b32 v87, a201
	v_accvgpr_read_b32 v88, a194
	v_fmac_f64_e32 v[76:77], v[80:81], v[240:241]
	v_fma_f64 v[78:79], v[80:81], v[242:243], -v[78:79]
	v_accvgpr_read_b32 v85, a199
	;; [unrolled: 8-line block ×7, first 2 shown]
	v_mul_f64 v[100:101], v[106:107], v[218:219]
	v_mul_f64 v[102:103], v[106:107], v[216:217]
	v_accvgpr_read_b32 v114, a236
	v_accvgpr_read_b32 v115, a237
	v_fmac_f64_e32 v[100:101], v[104:105], v[216:217]
	v_fma_f64 v[102:103], v[104:105], v[218:219], -v[102:103]
	s_waitcnt lgkmcnt(13)
	v_mul_f64 v[104:105], v[114:115], v[214:215]
	v_mul_f64 v[106:107], v[114:115], v[212:213]
	v_accvgpr_read_b32 v114, a222
	v_accvgpr_read_b32 v113, a235
	;; [unrolled: 1-line block ×4, first 2 shown]
	v_fmac_f64_e32 v[104:105], v[112:113], v[212:213]
	v_fma_f64 v[106:107], v[112:113], v[214:215], -v[106:107]
	v_accvgpr_read_b32 v115, a223
	s_waitcnt lgkmcnt(12)
	v_mul_f64 v[112:113], v[116:117], v[70:71]
	v_fmac_f64_e32 v[112:113], v[114:115], v[68:69]
	v_mul_f64 v[68:69], v[116:117], v[68:69]
	v_fma_f64 v[68:69], v[114:115], v[70:71], -v[68:69]
	v_accvgpr_read_b32 v114, a230
	v_accvgpr_read_b32 v116, a232
	v_accvgpr_read_b32 v117, a233
	v_accvgpr_read_b32 v115, a231
	s_waitcnt lgkmcnt(10)
	v_mul_f64 v[70:71], v[116:117], v[66:67]
	v_fmac_f64_e32 v[70:71], v[114:115], v[64:65]
	v_mul_f64 v[64:65], v[116:117], v[64:65]
	v_fma_f64 v[114:115], v[114:115], v[66:67], -v[64:65]
	v_accvgpr_read_b32 v64, a226
	v_accvgpr_read_b32 v66, a228
	v_accvgpr_read_b32 v67, a229
	;; [unrolled: 9-line block ×7, first 2 shown]
	v_accvgpr_read_b32 v56, a0
	s_waitcnt lgkmcnt(1)
	v_mul_f64 v[38:39], v[58:59], v[54:55]
	v_mul_f64 v[50:51], v[58:59], v[52:53]
	v_fmac_f64_e32 v[38:39], v[56:57], v[52:53]
	v_fma_f64 v[122:123], v[56:57], v[54:55], -v[50:51]
	v_accvgpr_read_b32 v50, a112
	v_accvgpr_read_b32 v52, a114
	;; [unrolled: 1-line block ×4, first 2 shown]
	s_waitcnt lgkmcnt(0)
	v_mul_f64 v[124:125], v[52:53], v[46:47]
	v_fmac_f64_e32 v[124:125], v[50:51], v[44:45]
	v_mul_f64 v[44:45], v[52:53], v[44:45]
	v_fma_f64 v[126:127], v[50:51], v[46:47], -v[44:45]
	v_add_f64 v[44:45], v[32:33], v[72:73]
	v_add_f64 v[248:249], v[44:45], v[76:77]
	v_add_f64 v[44:45], v[72:73], v[76:77]
	v_fmac_f64_e32 v[32:33], -0.5, v[44:45]
	v_add_f64 v[44:45], v[74:75], -v[78:79]
	v_fma_f64 v[240:241], s[0:1], v[44:45], v[32:33]
	v_fmac_f64_e32 v[32:33], s[8:9], v[44:45]
	v_add_f64 v[44:45], v[34:35], v[74:75]
	v_add_f64 v[250:251], v[44:45], v[78:79]
	v_add_f64 v[44:45], v[74:75], v[78:79]
	v_fmac_f64_e32 v[34:35], -0.5, v[44:45]
	v_add_f64 v[44:45], v[72:73], -v[76:77]
	v_fma_f64 v[242:243], s[8:9], v[44:45], v[34:35]
	v_fmac_f64_e32 v[34:35], s[0:1], v[44:45]
	;; [unrolled: 7-line block ×16, first 2 shown]
	v_add_f64 v[36:37], v[4:5], v[38:39]
	v_add_f64 v[40:41], v[36:37], v[124:125]
	;; [unrolled: 1-line block ×3, first 2 shown]
	v_fmac_f64_e32 v[4:5], -0.5, v[36:37]
	v_add_f64 v[42:43], v[122:123], -v[126:127]
	v_add_f64 v[68:69], v[122:123], v[126:127]
	v_fma_f64 v[36:37], s[0:1], v[42:43], v[4:5]
	v_fmac_f64_e32 v[4:5], s[8:9], v[42:43]
	v_add_f64 v[42:43], v[6:7], v[122:123]
	v_fmac_f64_e32 v[6:7], -0.5, v[68:69]
	v_add_f64 v[68:69], v[38:39], -v[124:125]
	v_fma_f64 v[38:39], s[8:9], v[68:69], v[6:7]
	v_fmac_f64_e32 v[6:7], s[0:1], v[68:69]
	s_waitcnt lgkmcnt(0)
	; wave barrier
	scratch_load_dword v68, off, off offset:200 ; 4-byte Folded Reload
	s_waitcnt vmcnt(0)
	ds_write_b128 v68, v[248:251]
	ds_write_b128 v68, v[240:243] offset:144
	ds_write_b128 v68, v[32:35] offset:288
	scratch_load_dword v32, off, off offset:128 ; 4-byte Folded Reload
	s_waitcnt vmcnt(0)
	ds_write_b128 v32, v[244:247]
	ds_write_b128 v32, v[236:239] offset:144
	ds_write_b128 v32, v[28:31] offset:288
	;; [unrolled: 5-line block ×3, first 2 shown]
	scratch_load_dword v24, off, off        ; 4-byte Folded Reload
	s_waitcnt vmcnt(0)
	ds_write_b128 v24, v[224:227]
	ds_write_b128 v24, v[220:223] offset:144
	ds_write_b128 v24, v[20:23] offset:288
	scratch_load_dword v20, off, off offset:24 ; 4-byte Folded Reload
	s_waitcnt vmcnt(0)
	ds_write_b128 v20, v[216:219]
	ds_write_b128 v20, v[212:215] offset:144
	ds_write_b128 v20, v[16:19] offset:288
	scratch_load_dword v16, off, off offset:28 ; 4-byte Folded Reload
	;; [unrolled: 5-line block ×5, first 2 shown]
	v_add_f64 v[42:43], v[42:43], v[126:127]
	s_waitcnt vmcnt(0)
	ds_write_b128 v0, v[40:43]
	ds_write_b128 v0, v[36:39] offset:144
	ds_write_b128 v0, v[4:7] offset:288
	s_waitcnt lgkmcnt(0)
	; wave barrier
	s_waitcnt lgkmcnt(0)
	ds_read_b128 v[0:3], v108
	ds_read_b128 v[40:43], v108 offset:9072
	ds_read_b128 v[36:39], v108 offset:18144
	;; [unrolled: 1-line block ×26, first 2 shown]
	scratch_load_dwordx4 v[104:107], off, off offset:536 ; 16-byte Folded Reload
	s_waitcnt vmcnt(0) lgkmcnt(14)
	v_mul_f64 v[72:73], v[106:107], v[42:43]
	v_fmac_f64_e32 v[72:73], v[104:105], v[40:41]
	v_mul_f64 v[40:41], v[106:107], v[40:41]
	v_fma_f64 v[42:43], v[104:105], v[42:43], -v[40:41]
	scratch_load_dwordx4 v[104:107], off, off offset:552 ; 16-byte Folded Reload
	s_waitcnt vmcnt(0)
	v_mul_f64 v[74:75], v[106:107], v[38:39]
	v_fmac_f64_e32 v[74:75], v[104:105], v[36:37]
	v_mul_f64 v[36:37], v[106:107], v[36:37]
	v_fma_f64 v[104:105], v[104:105], v[38:39], -v[36:37]
	scratch_load_dwordx4 v[38:41], off, off offset:584 ; 16-byte Folded Reload
	s_waitcnt vmcnt(0)
	v_mul_f64 v[106:107], v[40:41], v[46:47]
	v_mul_f64 v[36:37], v[40:41], v[44:45]
	v_fmac_f64_e32 v[106:107], v[38:39], v[44:45]
	v_fma_f64 v[112:113], v[38:39], v[46:47], -v[36:37]
	scratch_load_dwordx4 v[38:41], off, off offset:568 ; 16-byte Folded Reload
	v_add_f64 v[44:45], v[72:73], -v[74:75]
	s_waitcnt vmcnt(0)
	v_mul_f64 v[114:115], v[40:41], v[50:51]
	v_mul_f64 v[36:37], v[40:41], v[48:49]
	v_fmac_f64_e32 v[114:115], v[38:39], v[48:49]
	v_fma_f64 v[50:51], v[38:39], v[50:51], -v[36:37]
	scratch_load_dwordx4 v[38:41], off, off offset:616 ; 16-byte Folded Reload
	v_add_f64 v[46:47], v[106:107], v[114:115]
	s_waitcnt vmcnt(0)
	v_mul_f64 v[116:117], v[40:41], v[58:59]
	v_mul_f64 v[36:37], v[40:41], v[56:57]
	v_fmac_f64_e32 v[116:117], v[38:39], v[56:57]
	v_fma_f64 v[118:119], v[38:39], v[58:59], -v[36:37]
	scratch_load_dwordx4 v[38:41], off, off offset:600 ; 16-byte Folded Reload
	s_waitcnt vmcnt(0)
	v_mul_f64 v[120:121], v[40:41], v[54:55]
	v_mul_f64 v[36:37], v[40:41], v[52:53]
	v_fmac_f64_e32 v[120:121], v[38:39], v[52:53]
	v_fma_f64 v[122:123], v[38:39], v[54:55], -v[36:37]
	scratch_load_dwordx4 v[38:41], off, off offset:660 ; 16-byte Folded Reload
	;; [unrolled: 6-line block ×3, first 2 shown]
	v_add_f64 v[60:61], v[106:107], -v[114:115]
	v_add_f64 v[62:63], v[116:117], v[120:121]
	s_waitcnt vmcnt(0)
	v_mul_f64 v[220:221], v[40:41], v[66:67]
	v_mul_f64 v[36:37], v[40:41], v[64:65]
	v_fmac_f64_e32 v[220:221], v[38:39], v[64:65]
	v_fma_f64 v[222:223], v[38:39], v[66:67], -v[36:37]
	scratch_load_dwordx4 v[38:41], off, off offset:676 ; 16-byte Folded Reload
	v_add_f64 v[66:67], v[118:119], v[122:123]
	s_waitcnt vmcnt(0) lgkmcnt(13)
	v_mul_f64 v[224:225], v[40:41], v[70:71]
	v_mul_f64 v[36:37], v[40:41], v[68:69]
	v_fmac_f64_e32 v[224:225], v[38:39], v[68:69]
	v_fma_f64 v[226:227], v[38:39], v[70:71], -v[36:37]
	scratch_load_dwordx4 v[38:41], off, off offset:692 ; 16-byte Folded Reload
	v_add_f64 v[68:69], v[116:117], -v[120:121]
	v_add_f64 v[70:71], v[124:125], v[220:221]
	s_waitcnt vmcnt(0) lgkmcnt(12)
	v_mul_f64 v[228:229], v[40:41], v[78:79]
	v_mul_f64 v[36:37], v[40:41], v[76:77]
	v_fmac_f64_e32 v[228:229], v[38:39], v[76:77]
	v_fma_f64 v[230:231], v[38:39], v[78:79], -v[36:37]
	scratch_load_dwordx4 v[38:41], off, off offset:732 ; 16-byte Folded Reload
	s_waitcnt lgkmcnt(0)
	; wave barrier
	s_waitcnt vmcnt(0) lgkmcnt(0)
	v_mul_f64 v[232:233], v[40:41], v[82:83]
	v_mul_f64 v[36:37], v[40:41], v[80:81]
	v_fmac_f64_e32 v[232:233], v[38:39], v[80:81]
	v_fma_f64 v[234:235], v[38:39], v[82:83], -v[36:37]
	v_accvgpr_read_b32 v38, a162
	v_accvgpr_read_b32 v40, a164
	v_accvgpr_read_b32 v41, a165
	v_accvgpr_read_b32 v39, a163
	v_mul_f64 v[236:237], v[40:41], v[86:87]
	v_mul_f64 v[36:37], v[40:41], v[84:85]
	v_fmac_f64_e32 v[236:237], v[38:39], v[84:85]
	v_fma_f64 v[238:239], v[38:39], v[86:87], -v[36:37]
	v_accvgpr_read_b32 v38, a166
	v_accvgpr_read_b32 v40, a168
	v_accvgpr_read_b32 v41, a169
	v_accvgpr_read_b32 v39, a167
	;; [unrolled: 8-line block ×7, first 2 shown]
	v_mul_f64 v[54:55], v[40:41], v[218:219]
	v_mul_f64 v[36:37], v[40:41], v[216:217]
	v_fmac_f64_e32 v[54:55], v[38:39], v[216:217]
	v_fma_f64 v[58:59], v[38:39], v[218:219], -v[36:37]
	v_add_f64 v[38:39], v[72:73], v[74:75]
	v_add_f64 v[36:37], v[0:1], v[72:73]
	v_fmac_f64_e32 v[0:1], -0.5, v[38:39]
	v_add_f64 v[38:39], v[42:43], -v[104:105]
	v_fma_f64 v[40:41], s[0:1], v[38:39], v[0:1]
	v_fmac_f64_e32 v[0:1], s[8:9], v[38:39]
	v_add_f64 v[38:39], v[2:3], v[42:43]
	v_add_f64 v[42:43], v[42:43], v[104:105]
	v_fmac_f64_e32 v[2:3], -0.5, v[42:43]
	v_fma_f64 v[42:43], s[8:9], v[44:45], v[2:3]
	v_fmac_f64_e32 v[2:3], s[0:1], v[44:45]
	v_add_f64 v[44:45], v[4:5], v[106:107]
	v_fmac_f64_e32 v[4:5], -0.5, v[46:47]
	v_add_f64 v[46:47], v[112:113], -v[50:51]
	v_fma_f64 v[48:49], s[0:1], v[46:47], v[4:5]
	v_fmac_f64_e32 v[4:5], s[8:9], v[46:47]
	v_add_f64 v[46:47], v[6:7], v[112:113]
	v_add_f64 v[46:47], v[46:47], v[50:51]
	;; [unrolled: 1-line block ×3, first 2 shown]
	v_fmac_f64_e32 v[6:7], -0.5, v[50:51]
	v_fma_f64 v[50:51], s[8:9], v[60:61], v[6:7]
	v_fmac_f64_e32 v[6:7], s[0:1], v[60:61]
	v_add_f64 v[60:61], v[8:9], v[116:117]
	v_fmac_f64_e32 v[8:9], -0.5, v[62:63]
	v_add_f64 v[62:63], v[118:119], -v[122:123]
	v_fma_f64 v[64:65], s[0:1], v[62:63], v[8:9]
	v_fmac_f64_e32 v[8:9], s[8:9], v[62:63]
	v_add_f64 v[62:63], v[10:11], v[118:119]
	v_fmac_f64_e32 v[10:11], -0.5, v[66:67]
	v_fma_f64 v[66:67], s[8:9], v[68:69], v[10:11]
	v_fmac_f64_e32 v[10:11], s[0:1], v[68:69]
	v_add_f64 v[68:69], v[12:13], v[124:125]
	v_fmac_f64_e32 v[12:13], -0.5, v[70:71]
	v_add_f64 v[70:71], v[126:127], -v[222:223]
	v_add_f64 v[72:73], v[126:127], v[222:223]
	v_fma_f64 v[76:77], s[0:1], v[70:71], v[12:13]
	v_fmac_f64_e32 v[12:13], s[8:9], v[70:71]
	v_add_f64 v[70:71], v[14:15], v[126:127]
	v_fmac_f64_e32 v[14:15], -0.5, v[72:73]
	v_add_f64 v[72:73], v[124:125], -v[220:221]
	v_fma_f64 v[78:79], s[8:9], v[72:73], v[14:15]
	v_fmac_f64_e32 v[14:15], s[0:1], v[72:73]
	v_add_f64 v[72:73], v[16:17], v[224:225]
	v_add_f64 v[80:81], v[72:73], v[228:229]
	v_add_f64 v[72:73], v[224:225], v[228:229]
	v_fmac_f64_e32 v[16:17], -0.5, v[72:73]
	v_add_f64 v[72:73], v[226:227], -v[230:231]
	v_fma_f64 v[84:85], s[0:1], v[72:73], v[16:17]
	v_fmac_f64_e32 v[16:17], s[8:9], v[72:73]
	v_add_f64 v[72:73], v[18:19], v[226:227]
	v_add_f64 v[82:83], v[72:73], v[230:231]
	;; [unrolled: 7-line block ×9, first 2 shown]
	v_add_f64 v[220:221], v[72:73], v[54:55]
	v_add_f64 v[72:73], v[52:53], v[54:55]
	v_fmac_f64_e32 v[20:21], -0.5, v[72:73]
	v_add_f64 v[72:73], v[56:57], -v[58:59]
	v_fma_f64 v[224:225], s[0:1], v[72:73], v[20:21]
	v_fmac_f64_e32 v[20:21], s[8:9], v[72:73]
	v_add_f64 v[72:73], v[22:23], v[56:57]
	v_add_f64 v[56:57], v[56:57], v[58:59]
	v_fmac_f64_e32 v[22:23], -0.5, v[56:57]
	v_add_f64 v[52:53], v[52:53], -v[54:55]
	v_fma_f64 v[226:227], s[8:9], v[52:53], v[22:23]
	v_fmac_f64_e32 v[22:23], s[0:1], v[52:53]
	scratch_load_dword v52, off, off offset:416 ; 4-byte Folded Reload
	v_add_f64 v[36:37], v[36:37], v[74:75]
	v_add_f64 v[38:39], v[38:39], v[104:105]
	s_waitcnt vmcnt(0)
	ds_write_b128 v52, v[36:39]
	ds_write_b128 v52, v[40:43] offset:432
	ds_write_b128 v52, v[0:3] offset:864
	scratch_load_dword v0, off, off offset:436 ; 4-byte Folded Reload
	v_add_f64 v[44:45], v[44:45], v[114:115]
	s_waitcnt vmcnt(0)
	ds_write_b128 v0, v[44:47]
	ds_write_b128 v0, v[48:51] offset:432
	ds_write_b128 v0, v[4:7] offset:864
	scratch_load_dword v0, off, off offset:708 ; 4-byte Folded Reload
	v_add_f64 v[60:61], v[60:61], v[120:121]
	v_add_f64 v[62:63], v[62:63], v[122:123]
	s_waitcnt vmcnt(0)
	ds_write_b128 v0, v[60:63]
	ds_write_b128 v0, v[64:67] offset:432
	ds_write_b128 v0, v[8:11] offset:864
	scratch_load_dword v0, off, off offset:712 ; 4-byte Folded Reload
	v_add_f64 v[70:71], v[70:71], v[222:223]
	s_waitcnt vmcnt(0)
	ds_write_b128 v0, v[68:71]
	ds_write_b128 v0, v[76:79] offset:432
	ds_write_b128 v0, v[12:15] offset:864
	scratch_load_dword v0, off, off offset:716 ; 4-byte Folded Reload
	s_waitcnt vmcnt(0)
	ds_write_b128 v0, v[80:83]
	ds_write_b128 v0, v[84:87] offset:432
	ds_write_b128 v0, v[16:19] offset:864
	scratch_load_dword v0, off, off offset:720 ; 4-byte Folded Reload
	;; [unrolled: 5-line block ×4, first 2 shown]
	v_accvgpr_read_b32 v107, a97
	v_add_f64 v[222:223], v[72:73], v[58:59]
	s_waitcnt vmcnt(0)
	ds_write_b128 v0, v[212:215]
	ds_write_b128 v0, v[216:219] offset:432
	ds_write_b128 v0, v[24:27] offset:864
	v_accvgpr_read_b32 v0, a160
	v_accvgpr_read_b32 v106, a96
	ds_write_b128 v0, v[220:223]
	ds_write_b128 v0, v[224:227] offset:432
	ds_write_b128 v0, v[20:23] offset:864
	s_waitcnt lgkmcnt(0)
	; wave barrier
	s_waitcnt lgkmcnt(0)
	ds_read_b128 v[24:27], v108
	ds_read_b128 v[12:15], v108 offset:9072
	ds_read_b128 v[8:11], v108 offset:18144
	ds_read_b128 v[28:31], v108 offset:1008
	ds_read_b128 v[16:19], v108 offset:10080
	ds_read_b128 v[20:23], v108 offset:19152
	ds_read_b128 v[32:35], v108 offset:2016
	ds_read_b128 v[52:55], v108 offset:11088
	ds_read_b128 v[56:59], v108 offset:20160
	ds_read_b128 v[36:39], v108 offset:3024
	ds_read_b128 v[60:63], v108 offset:12096
	ds_read_b128 v[64:67], v108 offset:21168
	ds_read_b128 v[40:43], v108 offset:4032
	ds_read_b128 v[68:71], v108 offset:13104
	ds_read_b128 v[76:79], v108 offset:22176
	ds_read_b128 v[44:47], v108 offset:5040
	ds_read_b128 v[80:83], v108 offset:14112
	ds_read_b128 v[84:87], v108 offset:23184
	ds_read_b128 v[48:51], v108 offset:6048
	ds_read_b128 v[88:91], v108 offset:15120
	ds_read_b128 v[92:95], v108 offset:24192
	ds_read_b128 v[0:3], v108 offset:7056
	ds_read_b128 v[96:99], v108 offset:16128
	ds_read_b128 v[100:103], v108 offset:25200
	ds_read_b128 v[4:7], v108 offset:8064
	ds_read_b128 v[212:215], v108 offset:17136
	ds_read_b128 v[216:219], v108 offset:26208
	v_accvgpr_read_b32 v105, a95
	v_accvgpr_read_b32 v104, a94
	s_waitcnt lgkmcnt(14)
	v_mul_f64 v[74:75], v[106:107], v[14:15]
	v_fmac_f64_e32 v[74:75], v[104:105], v[12:13]
	v_mul_f64 v[12:13], v[106:107], v[12:13]
	v_fma_f64 v[12:13], v[104:105], v[14:15], -v[12:13]
	v_accvgpr_read_b32 v107, a101
	v_accvgpr_read_b32 v106, a100
	v_accvgpr_read_b32 v105, a99
	v_accvgpr_read_b32 v104, a98
	v_mul_f64 v[14:15], v[106:107], v[10:11]
	v_fmac_f64_e32 v[14:15], v[104:105], v[8:9]
	v_mul_f64 v[8:9], v[106:107], v[8:9]
	v_fma_f64 v[8:9], v[104:105], v[10:11], -v[8:9]
	v_accvgpr_read_b32 v107, a89
	v_accvgpr_read_b32 v106, a88
	v_accvgpr_read_b32 v105, a87
	v_accvgpr_read_b32 v104, a86
	;; [unrolled: 8-line block ×3, first 2 shown]
	v_mul_f64 v[18:19], v[106:107], v[22:23]
	v_accvgpr_read_b32 v115, a105
	v_fmac_f64_e32 v[18:19], v[104:105], v[20:21]
	v_mul_f64 v[20:21], v[106:107], v[20:21]
	v_accvgpr_read_b32 v114, a104
	v_fma_f64 v[20:21], v[104:105], v[22:23], -v[20:21]
	v_accvgpr_read_b32 v113, a103
	v_accvgpr_read_b32 v112, a102
	v_mul_f64 v[104:105], v[114:115], v[54:55]
	v_mul_f64 v[22:23], v[114:115], v[52:53]
	v_fmac_f64_e32 v[104:105], v[112:113], v[52:53]
	v_fma_f64 v[106:107], v[112:113], v[54:55], -v[22:23]
	v_accvgpr_read_b32 v55, a43
	v_accvgpr_read_b32 v54, a42
	v_accvgpr_read_b32 v53, a41
	v_accvgpr_read_b32 v52, a40
	v_mul_f64 v[112:113], v[54:55], v[58:59]
	v_mul_f64 v[22:23], v[54:55], v[56:57]
	v_fmac_f64_e32 v[112:113], v[52:53], v[56:57]
	v_fma_f64 v[114:115], v[52:53], v[58:59], -v[22:23]
	v_accvgpr_read_b32 v55, a39
	v_accvgpr_read_b32 v54, a38
	;; [unrolled: 8-line block ×4, first 2 shown]
	v_accvgpr_read_b32 v55, a119
	v_accvgpr_read_b32 v53, a117
	s_waitcnt lgkmcnt(13)
	v_mul_f64 v[124:125], v[54:55], v[70:71]
	v_mul_f64 v[22:23], v[54:55], v[68:69]
	v_fmac_f64_e32 v[124:125], v[52:53], v[68:69]
	v_fma_f64 v[126:127], v[52:53], v[70:71], -v[22:23]
	v_accvgpr_read_b32 v52, a120
	v_accvgpr_read_b32 v54, a122
	v_accvgpr_read_b32 v55, a123
	v_accvgpr_read_b32 v53, a121
	s_waitcnt lgkmcnt(12)
	v_mul_f64 v[220:221], v[54:55], v[78:79]
	v_mul_f64 v[22:23], v[54:55], v[76:77]
	v_fmac_f64_e32 v[220:221], v[52:53], v[76:77]
	v_fma_f64 v[222:223], v[52:53], v[78:79], -v[22:23]
	v_accvgpr_read_b32 v52, a124
	v_accvgpr_read_b32 v54, a126
	;; [unrolled: 9-line block ×7, first 2 shown]
	v_accvgpr_read_b32 v55, a147
	s_waitcnt lgkmcnt(3)
	v_mul_f64 v[244:245], v[54:55], v[102:103]
	v_mul_f64 v[22:23], v[54:55], v[100:101]
	v_accvgpr_read_b32 v54, a148
	v_accvgpr_read_b32 v53, a145
	;; [unrolled: 1-line block ×4, first 2 shown]
	v_fmac_f64_e32 v[244:245], v[52:53], v[100:101]
	v_fma_f64 v[128:129], v[52:53], v[102:103], -v[22:23]
	v_accvgpr_read_b32 v55, a149
	s_waitcnt lgkmcnt(1)
	v_mul_f64 v[22:23], v[56:57], v[214:215]
	v_mul_f64 v[52:53], v[56:57], v[212:213]
	v_fmac_f64_e32 v[22:23], v[54:55], v[212:213]
	v_fma_f64 v[70:71], v[54:55], v[214:215], -v[52:53]
	v_accvgpr_read_b32 v54, a152
	v_accvgpr_read_b32 v56, a154
	;; [unrolled: 1-line block ×4, first 2 shown]
	s_waitcnt lgkmcnt(0)
	v_mul_f64 v[68:69], v[56:57], v[218:219]
	v_mul_f64 v[52:53], v[56:57], v[216:217]
	v_fmac_f64_e32 v[68:69], v[54:55], v[216:217]
	v_fma_f64 v[72:73], v[54:55], v[218:219], -v[52:53]
	v_add_f64 v[54:55], v[74:75], v[14:15]
	v_add_f64 v[52:53], v[24:25], v[74:75]
	v_fmac_f64_e32 v[24:25], -0.5, v[54:55]
	v_add_f64 v[54:55], v[12:13], -v[8:9]
	v_fma_f64 v[56:57], s[0:1], v[54:55], v[24:25]
	v_fmac_f64_e32 v[24:25], s[8:9], v[54:55]
	v_add_f64 v[54:55], v[26:27], v[12:13]
	v_add_f64 v[54:55], v[54:55], v[8:9]
	v_add_f64 v[8:9], v[12:13], v[8:9]
	v_fmac_f64_e32 v[26:27], -0.5, v[8:9]
	v_add_f64 v[8:9], v[74:75], -v[14:15]
	v_fma_f64 v[58:59], s[8:9], v[8:9], v[26:27]
	v_fmac_f64_e32 v[26:27], s[0:1], v[8:9]
	v_add_f64 v[8:9], v[28:29], v[10:11]
	;; [unrolled: 7-line block ×13, first 2 shown]
	v_add_f64 v[52:53], v[52:53], v[14:15]
	v_add_f64 v[114:115], v[8:9], v[238:239]
	;; [unrolled: 1-line block ×3, first 2 shown]
	v_fmac_f64_e32 v[50:51], -0.5, v[8:9]
	v_add_f64 v[8:9], v[232:233], -v[236:237]
	v_add_f64 v[10:11], v[240:241], v[244:245]
	s_waitcnt lgkmcnt(0)
	; wave barrier
	ds_write_b128 v108, v[52:55]
	ds_write_b128 v108, v[56:59] offset:1296
	ds_write_b128 v108, v[24:27] offset:2592
	v_accvgpr_read_b32 v24, a255
	v_fma_f64 v[118:119], s[8:9], v[8:9], v[50:51]
	v_fmac_f64_e32 v[50:51], s[0:1], v[8:9]
	v_add_f64 v[8:9], v[0:1], v[240:241]
	v_fmac_f64_e32 v[0:1], -0.5, v[10:11]
	v_add_f64 v[10:11], v[242:243], -v[128:129]
	v_add_f64 v[14:15], v[242:243], v[128:129]
	ds_write_b128 v24, v[60:63]
	ds_write_b128 v24, v[64:67] offset:1296
	ds_write_b128 v24, v[28:31] offset:2592
	v_accvgpr_read_b32 v24, a111
	v_fma_f64 v[12:13], s[0:1], v[10:11], v[0:1]
	v_fmac_f64_e32 v[0:1], s[8:9], v[10:11]
	v_add_f64 v[10:11], v[2:3], v[242:243]
	v_fmac_f64_e32 v[2:3], -0.5, v[14:15]
	v_add_f64 v[16:17], v[240:241], -v[244:245]
	v_add_f64 v[18:19], v[22:23], v[68:69]
	ds_write_b128 v24, v[74:77]
	ds_write_b128 v24, v[78:81] offset:1296
	ds_write_b128 v24, v[32:35] offset:2592
	v_accvgpr_read_b32 v24, a254
	v_fma_f64 v[14:15], s[8:9], v[16:17], v[2:3]
	v_fmac_f64_e32 v[2:3], s[0:1], v[16:17]
	v_add_f64 v[16:17], v[4:5], v[22:23]
	v_fmac_f64_e32 v[4:5], -0.5, v[18:19]
	v_add_f64 v[18:19], v[70:71], -v[72:73]
	ds_write_b128 v24, v[82:85]
	ds_write_b128 v24, v[86:89] offset:1296
	ds_write_b128 v24, v[36:39] offset:2592
	v_accvgpr_read_b32 v24, a53
	v_fma_f64 v[20:21], s[0:1], v[18:19], v[4:5]
	v_fmac_f64_e32 v[4:5], s[8:9], v[18:19]
	v_add_f64 v[18:19], v[6:7], v[70:71]
	v_add_f64 v[70:71], v[70:71], v[72:73]
	ds_write_b128 v24, v[90:93] offset:11664
	ds_write_b128 v24, v[94:97] offset:12960
	;; [unrolled: 1-line block ×3, first 2 shown]
	v_accvgpr_read_b32 v24, a161
	v_add_f64 v[16:17], v[16:17], v[68:69]
	v_fmac_f64_e32 v[6:7], -0.5, v[70:71]
	v_add_f64 v[68:69], v[22:23], -v[68:69]
	ds_write_b128 v24, v[98:101]
	ds_write_b128 v24, v[102:105] offset:1296
	ds_write_b128 v24, v[44:47] offset:2592
	v_accvgpr_read_b32 v24, a110
	v_add_f64 v[8:9], v[8:9], v[244:245]
	v_add_f64 v[10:11], v[10:11], v[128:129]
	;; [unrolled: 1-line block ×3, first 2 shown]
	v_fma_f64 v[22:23], s[8:9], v[68:69], v[6:7]
	v_fmac_f64_e32 v[6:7], s[0:1], v[68:69]
	ds_write_b128 v24, v[112:115]
	ds_write_b128 v24, v[116:119] offset:1296
	ds_write_b128 v24, v[48:51] offset:2592
	ds_write_b128 v111, v[8:11]
	ds_write_b128 v111, v[12:15] offset:1296
	ds_write_b128 v111, v[0:3] offset:2592
	;; [unrolled: 1-line block ×5, first 2 shown]
	s_waitcnt lgkmcnt(0)
	; wave barrier
	s_waitcnt lgkmcnt(0)
	ds_read_b128 v[32:35], v108
	ds_read_b128 v[104:107], v108 offset:3888
	ds_read_b128 v[100:103], v108 offset:7776
	;; [unrolled: 1-line block ×20, first 2 shown]
	s_and_saveexec_b64 s[0:1], vcc
	s_cbranch_execz .LBB0_7
; %bb.6:
	ds_read_b128 v[8:11], v108 offset:3024
	ds_read_b128 v[12:15], v108 offset:6912
	;; [unrolled: 1-line block ×7, first 2 shown]
.LBB0_7:
	s_or_b64 exec, exec, s[0:1]
	s_waitcnt lgkmcnt(14)
	v_mul_f64 v[112:113], v[154:155], v[106:107]
	v_fmac_f64_e32 v[112:113], v[152:153], v[104:105]
	v_mul_f64 v[104:105], v[154:155], v[104:105]
	v_fma_f64 v[104:105], v[152:153], v[106:107], -v[104:105]
	v_mul_f64 v[106:107], v[150:151], v[102:103]
	v_fmac_f64_e32 v[106:107], v[148:149], v[100:101]
	v_mul_f64 v[100:101], v[150:151], v[100:101]
	v_fma_f64 v[100:101], v[148:149], v[102:103], -v[100:101]
	v_mul_f64 v[102:103], v[146:147], v[98:99]
	v_accvgpr_read_b32 v114, a156
	v_fmac_f64_e32 v[102:103], v[144:145], v[96:97]
	v_mul_f64 v[96:97], v[146:147], v[96:97]
	v_accvgpr_read_b32 v116, a158
	v_accvgpr_read_b32 v117, a159
	v_fma_f64 v[96:97], v[144:145], v[98:99], -v[96:97]
	v_accvgpr_read_b32 v115, a157
	v_mul_f64 v[98:99], v[116:117], v[86:87]
	v_fmac_f64_e32 v[98:99], v[114:115], v[84:85]
	v_mul_f64 v[84:85], v[116:117], v[84:85]
	v_mul_f64 v[116:117], v[158:159], v[54:55]
	v_fmac_f64_e32 v[116:117], v[156:157], v[52:53]
	v_mul_f64 v[52:53], v[158:159], v[52:53]
	v_fma_f64 v[52:53], v[156:157], v[54:55], -v[52:53]
	s_waitcnt lgkmcnt(12)
	v_mul_f64 v[118:119], v[178:179], v[90:91]
	v_mul_f64 v[54:55], v[178:179], v[88:89]
	v_fmac_f64_e32 v[118:119], v[176:177], v[88:89]
	v_fma_f64 v[88:89], v[176:177], v[90:91], -v[54:55]
	s_waitcnt lgkmcnt(11)
	v_mul_f64 v[90:91], v[174:175], v[94:95]
	v_mul_f64 v[54:55], v[174:175], v[92:93]
	v_fmac_f64_e32 v[90:91], v[172:173], v[92:93]
	v_fma_f64 v[92:93], v[172:173], v[94:95], -v[54:55]
	s_waitcnt lgkmcnt(10)
	v_mul_f64 v[54:55], v[170:171], v[76:77]
	v_fma_f64 v[84:85], v[114:115], v[86:87], -v[84:85]
	v_mul_f64 v[86:87], v[162:163], v[74:75]
	v_fma_f64 v[120:121], v[168:169], v[78:79], -v[54:55]
	s_waitcnt lgkmcnt(9)
	v_mul_f64 v[54:55], v[166:167], v[80:81]
	v_fmac_f64_e32 v[86:87], v[160:161], v[72:73]
	v_mul_f64 v[72:73], v[162:163], v[72:73]
	v_mul_f64 v[122:123], v[166:167], v[82:83]
	v_fma_f64 v[124:125], v[164:165], v[82:83], -v[54:55]
	s_waitcnt lgkmcnt(8)
	v_mul_f64 v[54:55], v[186:187], v[60:61]
	v_fma_f64 v[114:115], v[160:161], v[74:75], -v[72:73]
	v_mul_f64 v[94:95], v[170:171], v[78:79]
	v_fmac_f64_e32 v[122:123], v[164:165], v[80:81]
	v_fma_f64 v[128:129], v[184:185], v[62:63], -v[54:55]
	s_waitcnt lgkmcnt(7)
	v_mul_f64 v[54:55], v[182:183], v[64:65]
	s_waitcnt lgkmcnt(2)
	v_mul_f64 v[72:73], v[190:191], v[46:47]
	;; [unrolled: 2-line block ×3, first 2 shown]
	v_fmac_f64_e32 v[94:95], v[168:169], v[76:77]
	v_mul_f64 v[126:127], v[186:187], v[62:63]
	v_mul_f64 v[130:131], v[182:183], v[66:67]
	v_fma_f64 v[132:133], v[180:181], v[66:67], -v[54:55]
	v_mul_f64 v[54:55], v[202:203], v[68:69]
	v_fmac_f64_e32 v[72:73], v[188:189], v[44:45]
	v_mul_f64 v[44:45], v[190:191], v[44:45]
	v_mul_f64 v[76:77], v[206:207], v[42:43]
	v_fmac_f64_e32 v[80:81], v[208:209], v[36:37]
	v_mul_f64 v[36:37], v[210:211], v[36:37]
	v_fmac_f64_e32 v[126:127], v[184:185], v[60:61]
	v_fmac_f64_e32 v[130:131], v[180:181], v[64:65]
	v_mul_f64 v[60:61], v[202:203], v[70:71]
	v_fma_f64 v[66:67], v[200:201], v[70:71], -v[54:55]
	v_mul_f64 v[54:55], v[198:199], v[56:57]
	v_mul_f64 v[64:65], v[194:195], v[50:51]
	v_fma_f64 v[74:75], v[188:189], v[46:47], -v[44:45]
	v_fmac_f64_e32 v[76:77], v[204:205], v[40:41]
	v_mul_f64 v[40:41], v[206:207], v[40:41]
	v_fma_f64 v[82:83], v[208:209], v[38:39], -v[36:37]
	v_add_f64 v[36:37], v[112:113], v[116:117]
	v_add_f64 v[44:45], v[106:107], v[86:87]
	v_fmac_f64_e32 v[60:61], v[200:201], v[68:69]
	v_mul_f64 v[62:63], v[198:199], v[58:59]
	v_fma_f64 v[68:69], v[196:197], v[58:59], -v[54:55]
	v_fmac_f64_e32 v[64:65], v[192:193], v[48:49]
	v_mul_f64 v[48:49], v[194:195], v[48:49]
	v_fma_f64 v[78:79], v[204:205], v[42:43], -v[40:41]
	v_add_f64 v[38:39], v[104:105], v[52:53]
	v_add_f64 v[42:43], v[104:105], -v[52:53]
	v_add_f64 v[46:47], v[100:101], v[114:115]
	v_add_f64 v[52:53], v[102:103], v[98:99]
	;; [unrolled: 1-line block ×3, first 2 shown]
	v_add_f64 v[58:59], v[84:85], -v[96:97]
	v_add_f64 v[84:85], v[44:45], v[36:37]
	v_fma_f64 v[70:71], v[192:193], v[50:51], -v[48:49]
	v_add_f64 v[48:49], v[106:107], -v[86:87]
	v_add_f64 v[86:87], v[46:47], v[38:39]
	v_add_f64 v[96:97], v[44:45], -v[36:37]
	v_add_f64 v[36:37], v[36:37], -v[52:53]
	;; [unrolled: 1-line block ×3, first 2 shown]
	v_add_f64 v[52:53], v[52:53], v[84:85]
	v_fmac_f64_e32 v[62:63], v[196:197], v[56:57]
	v_add_f64 v[40:41], v[112:113], -v[116:117]
	v_add_f64 v[50:51], v[100:101], -v[114:115]
	;; [unrolled: 1-line block ×6, first 2 shown]
	v_add_f64 v[54:55], v[54:55], v[86:87]
	v_add_f64 v[32:33], v[32:33], v[52:53]
	s_mov_b32 s10, 0x37e14327
	s_mov_b32 s12, 0x36b3c0b5
	;; [unrolled: 1-line block ×4, first 2 shown]
	v_add_f64 v[100:101], v[56:57], v[48:49]
	v_add_f64 v[102:103], v[58:59], v[50:51]
	v_add_f64 v[104:105], v[56:57], -v[48:49]
	v_add_f64 v[106:107], v[58:59], -v[50:51]
	;; [unrolled: 1-line block ×4, first 2 shown]
	v_add_f64 v[34:35], v[34:35], v[54:55]
	s_mov_b32 s11, 0x3fe948f6
	s_mov_b32 s13, 0x3fac98ee
	;; [unrolled: 1-line block ×4, first 2 shown]
	v_mov_b64_e32 v[112:113], v[32:33]
	s_mov_b32 s8, 0x5476071b
	s_mov_b32 s24, 0xb247c609
	v_add_f64 v[56:57], v[40:41], -v[56:57]
	v_add_f64 v[58:59], v[42:43], -v[58:59]
	v_add_f64 v[40:41], v[100:101], v[40:41]
	v_add_f64 v[42:43], v[102:103], v[42:43]
	v_mul_f64 v[36:37], v[36:37], s[10:11]
	v_mul_f64 v[38:39], v[38:39], s[10:11]
	;; [unrolled: 1-line block ×8, first 2 shown]
	v_fmac_f64_e32 v[112:113], s[22:23], v[52:53]
	v_mov_b64_e32 v[52:53], v[34:35]
	s_mov_b32 s9, 0x3fe77f67
	s_mov_b32 s16, s8
	;; [unrolled: 1-line block ×6, first 2 shown]
	v_fmac_f64_e32 v[52:53], s[22:23], v[54:55]
	v_fma_f64 v[54:55], v[96:97], s[8:9], -v[84:85]
	v_fma_f64 v[84:85], v[98:99], s[8:9], -v[86:87]
	;; [unrolled: 1-line block ×3, first 2 shown]
	v_fmac_f64_e32 v[36:37], s[12:13], v[44:45]
	v_fma_f64 v[44:45], v[98:99], s[16:17], -v[38:39]
	v_fma_f64 v[96:97], v[48:49], s[0:1], -v[100:101]
	v_fmac_f64_e32 v[100:101], s[24:25], v[56:57]
	v_fma_f64 v[48:49], v[50:51], s[0:1], -v[102:103]
	v_fmac_f64_e32 v[102:103], s[24:25], v[58:59]
	v_fma_f64 v[56:57], v[56:57], s[20:21], -v[104:105]
	v_fma_f64 v[58:59], v[58:59], s[20:21], -v[106:107]
	s_mov_b32 s19, 0xbfdc38aa
	v_fmac_f64_e32 v[38:39], s[12:13], v[46:47]
	v_add_f64 v[98:99], v[36:37], v[112:113]
	v_add_f64 v[50:51], v[54:55], v[112:113]
	;; [unrolled: 1-line block ×5, first 2 shown]
	v_fmac_f64_e32 v[102:103], s[18:19], v[42:43]
	v_fmac_f64_e32 v[96:97], s[18:19], v[40:41]
	;; [unrolled: 1-line block ×5, first 2 shown]
	v_add_f64 v[104:105], v[38:39], v[52:53]
	v_fmac_f64_e32 v[100:101], s[18:19], v[40:41]
	v_add_f64 v[36:37], v[102:103], v[98:99]
	v_add_f64 v[40:41], v[58:59], v[84:85]
	v_add_f64 v[42:43], v[86:87], -v[56:57]
	v_add_f64 v[44:45], v[50:51], -v[48:49]
	v_add_f64 v[46:47], v[96:97], v[54:55]
	v_add_f64 v[48:49], v[48:49], v[50:51]
	v_add_f64 v[50:51], v[54:55], -v[96:97]
	v_add_f64 v[52:53], v[84:85], -v[58:59]
	v_add_f64 v[54:55], v[56:57], v[86:87]
	v_add_f64 v[56:57], v[98:99], -v[102:103]
	v_add_f64 v[84:85], v[118:119], v[130:131]
	v_add_f64 v[98:99], v[90:91], v[126:127]
	v_add_f64 v[38:39], v[104:105], -v[100:101]
	v_add_f64 v[58:59], v[100:101], v[104:105]
	v_add_f64 v[86:87], v[88:89], v[132:133]
	;; [unrolled: 1-line block ×7, first 2 shown]
	v_add_f64 v[116:117], v[98:99], -v[84:85]
	v_add_f64 v[84:85], v[84:85], -v[102:103]
	;; [unrolled: 1-line block ×3, first 2 shown]
	v_add_f64 v[102:103], v[102:103], v[112:113]
	v_add_f64 v[96:97], v[118:119], -v[130:131]
	v_add_f64 v[90:91], v[90:91], -v[126:127]
	;; [unrolled: 1-line block ×6, first 2 shown]
	v_add_f64 v[104:105], v[104:105], v[114:115]
	v_add_f64 v[28:29], v[28:29], v[102:103]
	v_add_f64 v[88:89], v[88:89], -v[132:133]
	v_add_f64 v[92:93], v[92:93], -v[128:129]
	v_add_f64 v[106:107], v[124:125], -v[120:121]
	v_add_f64 v[120:121], v[94:95], v[90:91]
	v_add_f64 v[124:125], v[94:95], -v[90:91]
	v_add_f64 v[30:31], v[30:31], v[104:105]
	v_mov_b64_e32 v[128:129], v[28:29]
	v_add_f64 v[122:123], v[106:107], v[92:93]
	v_add_f64 v[126:127], v[106:107], -v[92:93]
	v_add_f64 v[94:95], v[96:97], -v[94:95]
	;; [unrolled: 1-line block ×4, first 2 shown]
	v_add_f64 v[96:97], v[120:121], v[96:97]
	v_mul_f64 v[84:85], v[84:85], s[10:11]
	v_mul_f64 v[86:87], v[86:87], s[10:11]
	;; [unrolled: 1-line block ×5, first 2 shown]
	v_fmac_f64_e32 v[128:129], s[22:23], v[102:103]
	v_mov_b64_e32 v[102:103], v[30:31]
	v_add_f64 v[106:107], v[88:89], -v[106:107]
	v_add_f64 v[88:89], v[122:123], v[88:89]
	v_mul_f64 v[122:123], v[126:127], s[14:15]
	v_mul_f64 v[126:127], v[92:93], s[0:1]
	v_fmac_f64_e32 v[102:103], s[22:23], v[104:105]
	v_fma_f64 v[104:105], v[116:117], s[8:9], -v[112:113]
	v_fma_f64 v[112:113], v[118:119], s[8:9], -v[114:115]
	;; [unrolled: 1-line block ×3, first 2 shown]
	v_fmac_f64_e32 v[84:85], s[12:13], v[98:99]
	v_fma_f64 v[98:99], v[118:119], s[16:17], -v[86:87]
	v_fmac_f64_e32 v[86:87], s[12:13], v[100:101]
	v_fma_f64 v[100:101], v[90:91], s[0:1], -v[120:121]
	v_mul_f64 v[124:125], v[90:91], s[0:1]
	v_fma_f64 v[116:117], v[92:93], s[0:1], -v[122:123]
	v_fmac_f64_e32 v[122:123], s[24:25], v[106:107]
	v_fma_f64 v[106:107], v[106:107], s[20:21], -v[126:127]
	v_add_f64 v[112:113], v[112:113], v[102:103]
	v_fmac_f64_e32 v[100:101], s[18:19], v[96:97]
	v_fmac_f64_e32 v[120:121], s[24:25], v[94:95]
	v_fma_f64 v[118:119], v[94:95], s[20:21], -v[124:125]
	v_add_f64 v[126:127], v[86:87], v[102:103]
	v_add_f64 v[114:115], v[114:115], v[128:129]
	;; [unrolled: 1-line block ×3, first 2 shown]
	v_fmac_f64_e32 v[106:107], s[18:19], v[88:89]
	v_add_f64 v[94:95], v[100:101], v[112:113]
	v_add_f64 v[98:99], v[112:113], -v[100:101]
	v_add_f64 v[112:113], v[60:61], v[80:81]
	v_add_f64 v[60:61], v[60:61], -v[80:81]
	v_add_f64 v[80:81], v[62:63], v[76:77]
	v_fmac_f64_e32 v[122:123], s[18:19], v[88:89]
	v_fmac_f64_e32 v[116:117], s[18:19], v[88:89]
	v_add_f64 v[88:89], v[106:107], v[114:115]
	v_add_f64 v[100:101], v[114:115], -v[106:107]
	v_add_f64 v[114:115], v[66:67], v[82:83]
	v_add_f64 v[66:67], v[66:67], -v[82:83]
	;; [unrolled: 2-line block ×6, first 2 shown]
	v_add_f64 v[74:75], v[82:83], v[114:115]
	v_add_f64 v[72:73], v[76:77], v[72:73]
	;; [unrolled: 1-line block ×4, first 2 shown]
	v_fmac_f64_e32 v[120:121], s[18:19], v[96:97]
	v_fmac_f64_e32 v[118:119], s[18:19], v[96:97]
	v_add_f64 v[74:75], v[78:79], v[74:75]
	v_add_f64 v[24:25], v[24:25], v[72:73]
	v_add_f64 v[84:85], v[122:123], v[124:125]
	v_add_f64 v[86:87], v[126:127], -v[120:121]
	v_add_f64 v[90:91], v[102:103], -v[118:119]
	;; [unrolled: 1-line block ×3, first 2 shown]
	v_add_f64 v[96:97], v[116:117], v[104:105]
	v_add_f64 v[102:103], v[118:119], v[102:103]
	v_add_f64 v[104:105], v[124:125], -v[122:123]
	v_add_f64 v[106:107], v[120:121], v[126:127]
	v_add_f64 v[116:117], v[80:81], -v[112:113]
	v_add_f64 v[118:119], v[82:83], -v[114:115]
	;; [unrolled: 1-line block ×6, first 2 shown]
	v_add_f64 v[120:121], v[64:65], v[62:63]
	v_add_f64 v[122:123], v[70:71], v[68:69]
	v_add_f64 v[124:125], v[64:65], -v[62:63]
	v_add_f64 v[126:127], v[70:71], -v[68:69]
	v_add_f64 v[62:63], v[62:63], -v[60:61]
	v_add_f64 v[68:69], v[68:69], -v[66:67]
	v_add_f64 v[26:27], v[26:27], v[74:75]
	v_mov_b64_e32 v[128:129], v[24:25]
	v_add_f64 v[64:65], v[60:61], -v[64:65]
	v_add_f64 v[70:71], v[66:67], -v[70:71]
	v_add_f64 v[60:61], v[120:121], v[60:61]
	v_add_f64 v[66:67], v[122:123], v[66:67]
	v_mul_f64 v[76:77], v[112:113], s[10:11]
	v_mul_f64 v[78:79], v[114:115], s[10:11]
	;; [unrolled: 1-line block ×8, first 2 shown]
	v_fmac_f64_e32 v[128:129], s[22:23], v[72:73]
	v_mov_b64_e32 v[72:73], v[26:27]
	v_fmac_f64_e32 v[72:73], s[22:23], v[74:75]
	v_fma_f64 v[74:75], v[116:117], s[8:9], -v[112:113]
	v_fma_f64 v[112:113], v[118:119], s[8:9], -v[114:115]
	;; [unrolled: 1-line block ×3, first 2 shown]
	v_fmac_f64_e32 v[76:77], s[12:13], v[80:81]
	v_fma_f64 v[80:81], v[118:119], s[16:17], -v[78:79]
	v_fmac_f64_e32 v[78:79], s[12:13], v[82:83]
	v_fma_f64 v[82:83], v[62:63], s[0:1], -v[120:121]
	;; [unrolled: 2-line block ×4, first 2 shown]
	v_fma_f64 v[124:125], v[70:71], s[20:21], -v[126:127]
	v_add_f64 v[126:127], v[76:77], v[128:129]
	v_add_f64 v[130:131], v[78:79], v[72:73]
	;; [unrolled: 1-line block ×6, first 2 shown]
	v_fmac_f64_e32 v[120:121], s[18:19], v[60:61]
	v_fmac_f64_e32 v[122:123], s[18:19], v[66:67]
	;; [unrolled: 1-line block ×6, first 2 shown]
	v_add_f64 v[60:61], v[122:123], v[126:127]
	v_add_f64 v[62:63], v[130:131], -v[120:121]
	v_add_f64 v[64:65], v[124:125], v[78:79]
	v_add_f64 v[66:67], v[80:81], -v[118:119]
	v_add_f64 v[68:69], v[74:75], -v[116:117]
	v_add_f64 v[70:71], v[82:83], v[76:77]
	v_add_f64 v[72:73], v[116:117], v[74:75]
	v_add_f64 v[74:75], v[76:77], -v[82:83]
	v_add_f64 v[76:77], v[78:79], -v[124:125]
	v_add_f64 v[78:79], v[118:119], v[80:81]
	v_add_f64 v[80:81], v[126:127], -v[122:123]
	v_add_f64 v[82:83], v[120:121], v[130:131]
	ds_write_b128 v108, v[32:35]
	ds_write_b128 v108, v[36:39] offset:3888
	ds_write_b128 v108, v[40:43] offset:7776
	;; [unrolled: 1-line block ×20, first 2 shown]
	s_and_saveexec_b64 s[26:27], vcc
	s_cbranch_execz .LBB0_9
; %bb.8:
	scratch_load_dwordx4 v[62:65], off, off offset:796 ; 16-byte Folded Reload
	scratch_load_dwordx4 v[50:53], off, off offset:780 ; 16-byte Folded Reload
	;; [unrolled: 1-line block ×6, first 2 shown]
	s_waitcnt vmcnt(5)
	v_mul_f64 v[24:25], v[64:65], v[14:15]
	s_waitcnt vmcnt(4)
	v_mul_f64 v[38:39], v[52:53], v[2:3]
	v_fmac_f64_e32 v[38:39], v[50:51], v[0:1]
	s_waitcnt vmcnt(2)
	v_mul_f64 v[40:41], v[72:73], v[6:7]
	v_mul_f64 v[0:1], v[52:53], v[0:1]
	v_fmac_f64_e32 v[24:25], v[62:63], v[12:13]
	s_waitcnt vmcnt(0)
	v_mul_f64 v[32:33], v[60:61], v[18:19]
	v_fmac_f64_e32 v[40:41], v[70:71], v[4:5]
	v_mul_f64 v[48:49], v[68:69], v[134:135]
	v_mul_f64 v[12:13], v[64:65], v[12:13]
	;; [unrolled: 1-line block ×3, first 2 shown]
	v_fma_f64 v[50:51], v[50:51], v[2:3], -v[0:1]
	v_mul_f64 v[2:3], v[60:61], v[16:17]
	v_fmac_f64_e32 v[32:33], v[58:59], v[16:17]
	v_fma_f64 v[48:49], v[66:67], v[136:137], -v[48:49]
	v_fma_f64 v[12:13], v[62:63], v[14:15], -v[12:13]
	;; [unrolled: 1-line block ×4, first 2 shown]
	v_mul_f64 v[2:3], v[56:57], v[20:21]
	v_add_f64 v[14:15], v[12:13], v[48:49]
	v_add_f64 v[52:53], v[50:51], v[4:5]
	v_fma_f64 v[18:19], v[54:55], v[22:23], -v[2:3]
	v_add_f64 v[0:1], v[52:53], v[14:15]
	v_add_f64 v[6:7], v[16:17], v[18:19]
	;; [unrolled: 1-line block ×3, first 2 shown]
	v_mul_f64 v[30:31], v[56:57], v[22:23]
	v_add_f64 v[2:3], v[10:11], v[0:1]
	v_fmac_f64_e32 v[30:31], v[54:55], v[20:21]
	v_mov_b64_e32 v[20:21], v[2:3]
	v_mul_f64 v[26:27], v[68:69], v[136:137]
	v_fmac_f64_e32 v[20:21], s[22:23], v[0:1]
	v_add_f64 v[0:1], v[14:15], -v[6:7]
	v_fmac_f64_e32 v[26:27], v[66:67], v[134:135]
	v_mul_f64 v[10:11], v[0:1], s[10:11]
	v_add_f64 v[0:1], v[6:7], -v[52:53]
	v_add_f64 v[28:29], v[24:25], -v[26:27]
	v_mul_f64 v[22:23], v[0:1], s[12:13]
	v_fma_f64 v[0:1], s[12:13], v[0:1], v[10:11]
	v_add_f64 v[24:25], v[24:25], v[26:27]
	v_add_f64 v[26:27], v[38:39], v[40:41]
	v_add_f64 v[34:35], v[30:31], -v[32:33]
	v_add_f64 v[54:55], v[0:1], v[20:21]
	v_add_f64 v[0:1], v[26:27], v[24:25]
	;; [unrolled: 1-line block ×3, first 2 shown]
	v_add_f64 v[42:43], v[38:39], -v[40:41]
	v_add_f64 v[32:33], v[30:31], v[0:1]
	v_add_f64 v[16:17], v[18:19], -v[16:17]
	v_add_f64 v[40:41], v[50:51], -v[4:5]
	v_add_f64 v[0:1], v[8:9], v[32:33]
	v_add_f64 v[8:9], v[24:25], -v[30:31]
	v_add_f64 v[4:5], v[16:17], -v[40:41]
	;; [unrolled: 1-line block ×4, first 2 shown]
	v_add_f64 v[34:35], v[34:35], v[42:43]
	v_mov_b64_e32 v[38:39], v[0:1]
	v_mul_f64 v[8:9], v[8:9], s[10:11]
	v_add_f64 v[30:31], v[30:31], -v[26:27]
	v_add_f64 v[12:13], v[12:13], -v[48:49]
	v_mul_f64 v[48:49], v[4:5], s[14:15]
	v_add_f64 v[4:5], v[16:17], v[40:41]
	v_add_f64 v[24:25], v[26:27], -v[24:25]
	v_add_f64 v[34:35], v[34:35], v[28:29]
	v_fmac_f64_e32 v[38:39], s[22:23], v[32:33]
	v_mul_f64 v[32:33], v[30:31], s[12:13]
	v_fma_f64 v[30:31], s[12:13], v[30:31], v[8:9]
	v_add_f64 v[18:19], v[12:13], -v[16:17]
	v_add_f64 v[16:17], v[4:5], v[12:13]
	v_add_f64 v[28:29], v[42:43], -v[28:29]
	v_add_f64 v[14:15], v[52:53], -v[14:15]
	v_fma_f64 v[8:9], v[24:25], s[16:17], -v[8:9]
	v_add_f64 v[12:13], v[40:41], -v[12:13]
	v_mul_f64 v[44:45], v[44:45], s[14:15]
	v_mul_f64 v[42:43], v[28:29], s[0:1]
	v_fma_f64 v[10:11], v[14:15], s[16:17], -v[10:11]
	v_add_f64 v[26:27], v[8:9], v[38:39]
	v_mul_f64 v[8:9], v[12:13], s[0:1]
	v_fma_f64 v[14:15], v[14:15], s[8:9], -v[22:23]
	v_fma_f64 v[46:47], s[24:25], v[36:37], v[44:45]
	v_fma_f64 v[50:51], s[24:25], v[18:19], v[48:49]
	v_fma_f64 v[36:37], v[36:37], s[20:21], -v[42:43]
	v_add_f64 v[42:43], v[10:11], v[20:21]
	v_fma_f64 v[40:41], v[18:19], s[20:21], -v[8:9]
	v_add_f64 v[18:19], v[14:15], v[20:21]
	v_fma_f64 v[20:21], v[28:29], s[0:1], -v[44:45]
	v_fma_f64 v[22:23], v[24:25], s[8:9], -v[32:33]
	;; [unrolled: 1-line block ×3, first 2 shown]
	v_fmac_f64_e32 v[46:47], s[18:19], v[34:35]
	v_add_f64 v[30:31], v[30:31], v[38:39]
	v_fmac_f64_e32 v[50:51], s[18:19], v[16:17]
	v_fmac_f64_e32 v[36:37], s[18:19], v[34:35]
	;; [unrolled: 1-line block ×4, first 2 shown]
	v_add_f64 v[22:23], v[22:23], v[38:39]
	v_fmac_f64_e32 v[24:25], s[18:19], v[16:17]
	v_add_f64 v[6:7], v[46:47], v[54:55]
	v_add_f64 v[4:5], v[30:31], -v[50:51]
	v_add_f64 v[10:11], v[36:37], v[42:43]
	v_add_f64 v[8:9], v[26:27], -v[40:41]
	v_add_f64 v[14:15], v[18:19], -v[20:21]
	v_add_f64 v[12:13], v[24:25], v[22:23]
	v_add_f64 v[18:19], v[20:21], v[18:19]
	v_add_f64 v[16:17], v[22:23], -v[24:25]
	v_add_f64 v[22:23], v[42:43], -v[36:37]
	v_add_f64 v[20:21], v[40:41], v[26:27]
	v_add_f64 v[26:27], v[54:55], -v[46:47]
	v_add_f64 v[24:25], v[50:51], v[30:31]
	ds_write_b128 v108, v[0:3] offset:3024
	ds_write_b128 v108, v[24:27] offset:6912
	;; [unrolled: 1-line block ×7, first 2 shown]
.LBB0_9:
	s_or_b64 exec, exec, s[26:27]
	s_waitcnt lgkmcnt(0)
	; wave barrier
	s_waitcnt lgkmcnt(0)
	scratch_load_dwordx4 v[16:19], off, off offset:520 ; 16-byte Folded Reload
	ds_read_b128 v[4:7], v108
	v_accvgpr_read_b32 v2, a52
	v_mad_u64_u32 v[14:15], s[0:1], s6, v2, 0
	v_mov_b32_e32 v0, v15
	v_mad_u64_u32 v[0:1], s[0:1], s7, v2, v[0:1]
	v_mov_b32_e32 v15, v0
	ds_read_b128 v[0:3], v108 offset:1008
	s_mov_b32 s0, 0x9c850ab
	v_mov_b32_e32 v12, s2
	v_mov_b32_e32 v13, s3
	s_mov_b32 s1, 0x3f434393
	v_lshl_add_u64 v[12:13], v[14:15], 4, v[12:13]
	v_mov_b32_e32 v22, 0x2370
	v_mov_b32_e32 v23, 0xffffbd10
	scratch_load_dwordx4 v[24:27], off, off offset:264 ; 16-byte Folded Reload
	s_waitcnt vmcnt(1) lgkmcnt(1)
	v_mul_f64 v[8:9], v[18:19], v[6:7]
	v_fmac_f64_e32 v[8:9], v[16:17], v[4:5]
	v_mul_f64 v[4:5], v[18:19], v[4:5]
	v_fma_f64 v[4:5], v[16:17], v[6:7], -v[4:5]
	v_mad_u64_u32 v[16:17], s[2:3], s4, v110, 0
	v_mul_f64 v[10:11], v[4:5], s[0:1]
	v_mov_b32_e32 v4, v17
	v_mad_u64_u32 v[4:5], s[2:3], s5, v110, v[4:5]
	v_mov_b32_e32 v17, v4
	v_lshl_add_u64 v[12:13], v[16:17], 4, v[12:13]
	scratch_load_dwordx4 v[16:19], off, off offset:8 ; 16-byte Folded Reload
	ds_read_b128 v[4:7], v108 offset:9072
	v_mul_f64 v[8:9], v[8:9], s[0:1]
	global_store_dwordx4 v[12:13], v[8:11], off
	ds_read_b128 v[8:11], v108 offset:8064
	v_mad_u64_u32 v[20:21], s[2:3], s4, v22, v[12:13]
	s_mul_i32 s2, s5, 0x2370
	s_nop 0
	v_add_u32_e32 v21, s2, v21
	s_mul_i32 s3, s5, 0xffffbd10
	s_sub_i32 s3, s3, s4
	s_waitcnt vmcnt(1) lgkmcnt(1)
	v_mul_f64 v[14:15], v[18:19], v[6:7]
	v_fmac_f64_e32 v[14:15], v[16:17], v[4:5]
	v_mul_f64 v[4:5], v[18:19], v[4:5]
	v_fma_f64 v[4:5], v[16:17], v[6:7], -v[4:5]
	v_mul_f64 v[16:17], v[4:5], s[0:1]
	ds_read_b128 v[4:7], v108 offset:18144
	v_mul_f64 v[14:15], v[14:15], s[0:1]
	global_store_dwordx4 v[20:21], v[14:17], off
	ds_read_b128 v[12:15], v108 offset:19152
	v_mad_u64_u32 v[20:21], s[6:7], s4, v22, v[20:21]
	s_waitcnt lgkmcnt(1)
	v_mul_f64 v[16:17], v[26:27], v[6:7]
	v_fmac_f64_e32 v[16:17], v[24:25], v[4:5]
	v_mul_f64 v[4:5], v[26:27], v[4:5]
	v_fma_f64 v[4:5], v[24:25], v[6:7], -v[4:5]
	v_mul_f64 v[16:17], v[16:17], s[0:1]
	v_mul_f64 v[18:19], v[4:5], s[0:1]
	v_add_u32_e32 v21, s2, v21
	global_store_dwordx4 v[20:21], v[16:19], off
	scratch_load_dwordx4 v[16:19], off, off offset:224 ; 16-byte Folded Reload
	v_mad_u64_u32 v[20:21], s[6:7], s4, v23, v[20:21]
	scratch_load_dwordx4 v[24:27], off, off offset:164 ; 16-byte Folded Reload
	v_add_u32_e32 v21, s3, v21
	s_waitcnt vmcnt(1)
	v_mul_f64 v[4:5], v[18:19], v[2:3]
	v_fmac_f64_e32 v[4:5], v[16:17], v[0:1]
	v_mul_f64 v[0:1], v[18:19], v[0:1]
	v_fma_f64 v[0:1], v[16:17], v[2:3], -v[0:1]
	v_mul_f64 v[6:7], v[0:1], s[0:1]
	ds_read_b128 v[0:3], v108 offset:10080
	v_mul_f64 v[4:5], v[4:5], s[0:1]
	global_store_dwordx4 v[20:21], v[4:7], off
	ds_read_b128 v[4:7], v108 offset:11088
	v_mad_u64_u32 v[20:21], s[6:7], s4, v22, v[20:21]
	s_waitcnt vmcnt(1) lgkmcnt(1)
	v_mul_f64 v[16:17], v[26:27], v[2:3]
	v_fmac_f64_e32 v[16:17], v[24:25], v[0:1]
	v_mul_f64 v[0:1], v[26:27], v[0:1]
	v_fma_f64 v[0:1], v[24:25], v[2:3], -v[0:1]
	v_mul_f64 v[16:17], v[16:17], s[0:1]
	v_mul_f64 v[18:19], v[0:1], s[0:1]
	v_add_u32_e32 v21, s2, v21
	global_store_dwordx4 v[20:21], v[16:19], off
	scratch_load_dwordx4 v[16:19], off, off offset:148 ; 16-byte Folded Reload
	v_mad_u64_u32 v[20:21], s[6:7], s4, v22, v[20:21]
	scratch_load_dwordx4 v[24:27], off, off offset:112 ; 16-byte Folded Reload
	v_add_u32_e32 v21, s2, v21
	s_waitcnt vmcnt(1)
	v_mul_f64 v[0:1], v[18:19], v[14:15]
	v_mul_f64 v[2:3], v[18:19], v[12:13]
	v_fmac_f64_e32 v[0:1], v[16:17], v[12:13]
	v_fma_f64 v[2:3], v[16:17], v[14:15], -v[2:3]
	ds_read_b128 v[12:15], v108 offset:2016
	v_mul_f64 v[0:1], v[0:1], s[0:1]
	v_mul_f64 v[2:3], v[2:3], s[0:1]
	global_store_dwordx4 v[20:21], v[0:3], off
	ds_read_b128 v[0:3], v108 offset:3024
	s_waitcnt vmcnt(1) lgkmcnt(1)
	v_mul_f64 v[16:17], v[26:27], v[14:15]
	v_fmac_f64_e32 v[16:17], v[24:25], v[12:13]
	v_mul_f64 v[12:13], v[26:27], v[12:13]
	v_fma_f64 v[12:13], v[24:25], v[14:15], -v[12:13]
	v_mad_u64_u32 v[20:21], s[6:7], s4, v23, v[20:21]
	v_mul_f64 v[16:17], v[16:17], s[0:1]
	v_mul_f64 v[18:19], v[12:13], s[0:1]
	v_add_u32_e32 v21, s3, v21
	global_store_dwordx4 v[20:21], v[16:19], off
	scratch_load_dwordx4 v[14:17], off, off offset:96 ; 16-byte Folded Reload
	v_mad_u64_u32 v[20:21], s[6:7], s4, v22, v[20:21]
	scratch_load_dwordx4 v[24:27], off, off offset:64 ; 16-byte Folded Reload
	v_add_u32_e32 v21, s2, v21
	s_waitcnt vmcnt(1)
	v_mul_f64 v[12:13], v[16:17], v[6:7]
	v_fmac_f64_e32 v[12:13], v[14:15], v[4:5]
	v_mul_f64 v[4:5], v[16:17], v[4:5]
	v_fma_f64 v[4:5], v[14:15], v[6:7], -v[4:5]
	v_mul_f64 v[14:15], v[4:5], s[0:1]
	ds_read_b128 v[4:7], v108 offset:20160
	v_mul_f64 v[12:13], v[12:13], s[0:1]
	global_store_dwordx4 v[20:21], v[12:15], off
	ds_read_b128 v[12:15], v108 offset:21168
	v_mad_u64_u32 v[20:21], s[6:7], s4, v22, v[20:21]
	s_waitcnt vmcnt(1) lgkmcnt(1)
	v_mul_f64 v[16:17], v[26:27], v[6:7]
	v_fmac_f64_e32 v[16:17], v[24:25], v[4:5]
	v_mul_f64 v[4:5], v[26:27], v[4:5]
	v_fma_f64 v[4:5], v[24:25], v[6:7], -v[4:5]
	v_mul_f64 v[16:17], v[16:17], s[0:1]
	v_mul_f64 v[18:19], v[4:5], s[0:1]
	v_add_u32_e32 v21, s2, v21
	global_store_dwordx4 v[20:21], v[16:19], off
	scratch_load_dwordx4 v[16:19], off, off offset:44 ; 16-byte Folded Reload
	v_mad_u64_u32 v[20:21], s[6:7], s4, v23, v[20:21]
	scratch_load_dwordx4 v[24:27], off, off offset:504 ; 16-byte Folded Reload
	v_add_u32_e32 v21, s3, v21
	s_waitcnt vmcnt(1)
	v_mul_f64 v[4:5], v[18:19], v[2:3]
	v_fmac_f64_e32 v[4:5], v[16:17], v[0:1]
	v_mul_f64 v[0:1], v[18:19], v[0:1]
	v_fma_f64 v[0:1], v[16:17], v[2:3], -v[0:1]
	v_mul_f64 v[6:7], v[0:1], s[0:1]
	ds_read_b128 v[0:3], v108 offset:12096
	v_mul_f64 v[4:5], v[4:5], s[0:1]
	global_store_dwordx4 v[20:21], v[4:7], off
	ds_read_b128 v[4:7], v108 offset:13104
	v_mad_u64_u32 v[20:21], s[6:7], s4, v22, v[20:21]
	s_waitcnt vmcnt(1) lgkmcnt(1)
	v_mul_f64 v[16:17], v[26:27], v[2:3]
	v_fmac_f64_e32 v[16:17], v[24:25], v[0:1]
	v_mul_f64 v[0:1], v[26:27], v[0:1]
	v_fma_f64 v[0:1], v[24:25], v[2:3], -v[0:1]
	v_mul_f64 v[16:17], v[16:17], s[0:1]
	v_mul_f64 v[18:19], v[0:1], s[0:1]
	v_add_u32_e32 v21, s2, v21
	global_store_dwordx4 v[20:21], v[16:19], off
	scratch_load_dwordx4 v[16:19], off, off offset:488 ; 16-byte Folded Reload
	v_mad_u64_u32 v[20:21], s[6:7], s4, v22, v[20:21]
	scratch_load_dwordx4 v[24:27], off, off offset:472 ; 16-byte Folded Reload
	v_add_u32_e32 v21, s2, v21
	s_waitcnt vmcnt(1)
	v_mul_f64 v[0:1], v[18:19], v[14:15]
	v_mul_f64 v[2:3], v[18:19], v[12:13]
	v_fmac_f64_e32 v[0:1], v[16:17], v[12:13]
	v_fma_f64 v[2:3], v[16:17], v[14:15], -v[2:3]
	ds_read_b128 v[12:15], v108 offset:4032
	v_mul_f64 v[0:1], v[0:1], s[0:1]
	v_mul_f64 v[2:3], v[2:3], s[0:1]
	global_store_dwordx4 v[20:21], v[0:3], off
	ds_read_b128 v[0:3], v108 offset:5040
	s_waitcnt vmcnt(1) lgkmcnt(1)
	v_mul_f64 v[16:17], v[26:27], v[14:15]
	v_fmac_f64_e32 v[16:17], v[24:25], v[12:13]
	v_mul_f64 v[12:13], v[26:27], v[12:13]
	v_fma_f64 v[12:13], v[24:25], v[14:15], -v[12:13]
	v_mad_u64_u32 v[20:21], s[6:7], s4, v23, v[20:21]
	v_mul_f64 v[16:17], v[16:17], s[0:1]
	v_mul_f64 v[18:19], v[12:13], s[0:1]
	v_add_u32_e32 v21, s3, v21
	global_store_dwordx4 v[20:21], v[16:19], off
	scratch_load_dwordx4 v[14:17], off, off offset:456 ; 16-byte Folded Reload
	v_mad_u64_u32 v[20:21], s[6:7], s4, v22, v[20:21]
	scratch_load_dwordx4 v[24:27], off, off offset:440 ; 16-byte Folded Reload
	v_add_u32_e32 v21, s2, v21
	s_waitcnt vmcnt(1)
	v_mul_f64 v[12:13], v[16:17], v[6:7]
	v_fmac_f64_e32 v[12:13], v[14:15], v[4:5]
	v_mul_f64 v[4:5], v[16:17], v[4:5]
	v_fma_f64 v[4:5], v[14:15], v[6:7], -v[4:5]
	v_mul_f64 v[14:15], v[4:5], s[0:1]
	ds_read_b128 v[4:7], v108 offset:22176
	v_mul_f64 v[12:13], v[12:13], s[0:1]
	global_store_dwordx4 v[20:21], v[12:15], off
	ds_read_b128 v[12:15], v108 offset:23184
	v_mad_u64_u32 v[20:21], s[6:7], s4, v22, v[20:21]
	s_waitcnt vmcnt(1) lgkmcnt(1)
	v_mul_f64 v[16:17], v[26:27], v[6:7]
	v_fmac_f64_e32 v[16:17], v[24:25], v[4:5]
	v_mul_f64 v[4:5], v[26:27], v[4:5]
	v_fma_f64 v[4:5], v[24:25], v[6:7], -v[4:5]
	v_mul_f64 v[16:17], v[16:17], s[0:1]
	v_mul_f64 v[18:19], v[4:5], s[0:1]
	v_add_u32_e32 v21, s2, v21
	global_store_dwordx4 v[20:21], v[16:19], off
	scratch_load_dwordx4 v[16:19], off, off offset:420 ; 16-byte Folded Reload
	v_mad_u64_u32 v[20:21], s[6:7], s4, v23, v[20:21]
	scratch_load_dwordx4 v[24:27], off, off offset:400 ; 16-byte Folded Reload
	v_add_u32_e32 v21, s3, v21
	s_waitcnt vmcnt(1)
	v_mul_f64 v[4:5], v[18:19], v[2:3]
	v_fmac_f64_e32 v[4:5], v[16:17], v[0:1]
	v_mul_f64 v[0:1], v[18:19], v[0:1]
	v_fma_f64 v[0:1], v[16:17], v[2:3], -v[0:1]
	v_mul_f64 v[6:7], v[0:1], s[0:1]
	ds_read_b128 v[0:3], v108 offset:14112
	v_mul_f64 v[4:5], v[4:5], s[0:1]
	global_store_dwordx4 v[20:21], v[4:7], off
	ds_read_b128 v[4:7], v108 offset:15120
	v_mad_u64_u32 v[20:21], s[6:7], s4, v22, v[20:21]
	s_waitcnt vmcnt(1) lgkmcnt(1)
	v_mul_f64 v[16:17], v[26:27], v[2:3]
	v_fmac_f64_e32 v[16:17], v[24:25], v[0:1]
	v_mul_f64 v[0:1], v[26:27], v[0:1]
	v_fma_f64 v[0:1], v[24:25], v[2:3], -v[0:1]
	v_mul_f64 v[16:17], v[16:17], s[0:1]
	v_mul_f64 v[18:19], v[0:1], s[0:1]
	v_add_u32_e32 v21, s2, v21
	global_store_dwordx4 v[20:21], v[16:19], off
	scratch_load_dwordx4 v[16:19], off, off offset:360 ; 16-byte Folded Reload
	v_mad_u64_u32 v[20:21], s[6:7], s4, v22, v[20:21]
	scratch_load_dwordx4 v[24:27], off, off offset:344 ; 16-byte Folded Reload
	v_add_u32_e32 v21, s2, v21
	s_waitcnt vmcnt(1)
	v_mul_f64 v[0:1], v[18:19], v[14:15]
	v_mul_f64 v[2:3], v[18:19], v[12:13]
	v_fmac_f64_e32 v[0:1], v[16:17], v[12:13]
	v_fma_f64 v[2:3], v[16:17], v[14:15], -v[2:3]
	ds_read_b128 v[12:15], v108 offset:6048
	v_mul_f64 v[0:1], v[0:1], s[0:1]
	v_mul_f64 v[2:3], v[2:3], s[0:1]
	global_store_dwordx4 v[20:21], v[0:3], off
	ds_read_b128 v[0:3], v108 offset:7056
	s_waitcnt vmcnt(1) lgkmcnt(1)
	v_mul_f64 v[16:17], v[26:27], v[14:15]
	v_fmac_f64_e32 v[16:17], v[24:25], v[12:13]
	v_mul_f64 v[12:13], v[26:27], v[12:13]
	v_fma_f64 v[12:13], v[24:25], v[14:15], -v[12:13]
	v_mad_u64_u32 v[20:21], s[6:7], s4, v23, v[20:21]
	v_mul_f64 v[16:17], v[16:17], s[0:1]
	v_mul_f64 v[18:19], v[12:13], s[0:1]
	v_add_u32_e32 v21, s3, v21
	global_store_dwordx4 v[20:21], v[16:19], off
	scratch_load_dwordx4 v[14:17], off, off offset:328 ; 16-byte Folded Reload
	v_mad_u64_u32 v[20:21], s[6:7], s4, v22, v[20:21]
	scratch_load_dwordx4 v[24:27], off, off offset:312 ; 16-byte Folded Reload
	v_add_u32_e32 v21, s2, v21
	s_waitcnt vmcnt(1)
	v_mul_f64 v[12:13], v[16:17], v[6:7]
	v_fmac_f64_e32 v[12:13], v[14:15], v[4:5]
	v_mul_f64 v[4:5], v[16:17], v[4:5]
	v_fma_f64 v[4:5], v[14:15], v[6:7], -v[4:5]
	v_mul_f64 v[14:15], v[4:5], s[0:1]
	ds_read_b128 v[4:7], v108 offset:24192
	v_mul_f64 v[12:13], v[12:13], s[0:1]
	global_store_dwordx4 v[20:21], v[12:15], off
	ds_read_b128 v[12:15], v108 offset:25200
	v_mad_u64_u32 v[20:21], s[6:7], s4, v22, v[20:21]
	s_waitcnt vmcnt(1) lgkmcnt(1)
	v_mul_f64 v[16:17], v[26:27], v[6:7]
	v_fmac_f64_e32 v[16:17], v[24:25], v[4:5]
	v_mul_f64 v[4:5], v[26:27], v[4:5]
	v_fma_f64 v[4:5], v[24:25], v[6:7], -v[4:5]
	v_mul_f64 v[16:17], v[16:17], s[0:1]
	v_mul_f64 v[18:19], v[4:5], s[0:1]
	v_add_u32_e32 v21, s2, v21
	global_store_dwordx4 v[20:21], v[16:19], off
	scratch_load_dwordx4 v[16:19], off, off offset:296 ; 16-byte Folded Reload
	v_mad_u64_u32 v[20:21], s[6:7], s4, v23, v[20:21]
	scratch_load_dwordx4 v[24:27], off, off offset:280 ; 16-byte Folded Reload
	v_add_u32_e32 v21, s3, v21
	s_waitcnt vmcnt(1)
	v_mul_f64 v[4:5], v[18:19], v[2:3]
	v_fmac_f64_e32 v[4:5], v[16:17], v[0:1]
	v_mul_f64 v[0:1], v[18:19], v[0:1]
	v_fma_f64 v[0:1], v[16:17], v[2:3], -v[0:1]
	v_mul_f64 v[6:7], v[0:1], s[0:1]
	ds_read_b128 v[0:3], v108 offset:16128
	v_mul_f64 v[4:5], v[4:5], s[0:1]
	global_store_dwordx4 v[20:21], v[4:7], off
	ds_read_b128 v[4:7], v108 offset:17136
	v_mad_u64_u32 v[20:21], s[6:7], s4, v22, v[20:21]
	s_waitcnt vmcnt(1) lgkmcnt(1)
	v_mul_f64 v[16:17], v[26:27], v[2:3]
	v_fmac_f64_e32 v[16:17], v[24:25], v[0:1]
	v_mul_f64 v[0:1], v[26:27], v[0:1]
	v_fma_f64 v[0:1], v[24:25], v[2:3], -v[0:1]
	v_mul_f64 v[16:17], v[16:17], s[0:1]
	v_mul_f64 v[18:19], v[0:1], s[0:1]
	v_add_u32_e32 v21, s2, v21
	global_store_dwordx4 v[20:21], v[16:19], off
	scratch_load_dwordx4 v[16:19], off, off offset:204 ; 16-byte Folded Reload
	s_waitcnt vmcnt(0)
	v_mul_f64 v[0:1], v[18:19], v[14:15]
	v_mul_f64 v[2:3], v[18:19], v[12:13]
	v_fmac_f64_e32 v[0:1], v[16:17], v[12:13]
	v_fma_f64 v[2:3], v[16:17], v[14:15], -v[2:3]
	scratch_load_dwordx4 v[14:17], off, off offset:184 ; 16-byte Folded Reload
	v_mad_u64_u32 v[12:13], s[6:7], s4, v22, v[20:21]
	v_mul_f64 v[0:1], v[0:1], s[0:1]
	v_mul_f64 v[2:3], v[2:3], s[0:1]
	v_add_u32_e32 v13, s2, v13
	global_store_dwordx4 v[12:13], v[0:3], off
	s_waitcnt vmcnt(1)
	s_nop 0
	v_mul_f64 v[0:1], v[16:17], v[10:11]
	v_mul_f64 v[2:3], v[16:17], v[8:9]
	v_fmac_f64_e32 v[0:1], v[14:15], v[8:9]
	v_fma_f64 v[2:3], v[14:15], v[10:11], -v[2:3]
	v_mad_u64_u32 v[8:9], s[6:7], s4, v23, v[12:13]
	scratch_load_dwordx4 v[10:13], off, off offset:132 ; 16-byte Folded Reload
	v_mul_f64 v[0:1], v[0:1], s[0:1]
	v_mul_f64 v[2:3], v[2:3], s[0:1]
	v_add_u32_e32 v9, s3, v9
	global_store_dwordx4 v[8:9], v[0:3], off
	v_mad_u64_u32 v[8:9], s[6:7], s4, v22, v[8:9]
	v_add_u32_e32 v9, s2, v9
	s_waitcnt vmcnt(1) lgkmcnt(0)
	v_mul_f64 v[0:1], v[12:13], v[6:7]
	v_mul_f64 v[2:3], v[12:13], v[4:5]
	v_fmac_f64_e32 v[0:1], v[10:11], v[4:5]
	v_fma_f64 v[2:3], v[10:11], v[6:7], -v[2:3]
	scratch_load_dwordx4 v[10:13], off, off offset:80 ; 16-byte Folded Reload
	ds_read_b128 v[4:7], v108 offset:26208
	v_mul_f64 v[0:1], v[0:1], s[0:1]
	v_mul_f64 v[2:3], v[2:3], s[0:1]
	global_store_dwordx4 v[8:9], v[0:3], off
	s_waitcnt vmcnt(1) lgkmcnt(0)
	s_nop 0
	v_mul_f64 v[0:1], v[12:13], v[6:7]
	v_mul_f64 v[2:3], v[12:13], v[4:5]
	v_fmac_f64_e32 v[0:1], v[10:11], v[4:5]
	v_fma_f64 v[2:3], v[10:11], v[6:7], -v[2:3]
	v_mul_f64 v[0:1], v[0:1], s[0:1]
	v_mul_f64 v[2:3], v[2:3], s[0:1]
	v_mad_u64_u32 v[4:5], s[0:1], s4, v22, v[8:9]
	v_add_u32_e32 v5, s2, v5
	global_store_dwordx4 v[4:5], v[0:3], off
.LBB0_10:
	s_endpgm
	.section	.rodata,"a",@progbits
	.p2align	6, 0x0
	.amdhsa_kernel bluestein_single_fwd_len1701_dim1_dp_op_CI_CI
		.amdhsa_group_segment_fixed_size 27216
		.amdhsa_private_segment_fixed_size 848
		.amdhsa_kernarg_size 104
		.amdhsa_user_sgpr_count 2
		.amdhsa_user_sgpr_dispatch_ptr 0
		.amdhsa_user_sgpr_queue_ptr 0
		.amdhsa_user_sgpr_kernarg_segment_ptr 1
		.amdhsa_user_sgpr_dispatch_id 0
		.amdhsa_user_sgpr_kernarg_preload_length 0
		.amdhsa_user_sgpr_kernarg_preload_offset 0
		.amdhsa_user_sgpr_private_segment_size 0
		.amdhsa_uses_dynamic_stack 0
		.amdhsa_enable_private_segment 1
		.amdhsa_system_sgpr_workgroup_id_x 1
		.amdhsa_system_sgpr_workgroup_id_y 0
		.amdhsa_system_sgpr_workgroup_id_z 0
		.amdhsa_system_sgpr_workgroup_info 0
		.amdhsa_system_vgpr_workitem_id 0
		.amdhsa_next_free_vgpr 512
		.amdhsa_next_free_sgpr 28
		.amdhsa_accum_offset 256
		.amdhsa_reserve_vcc 1
		.amdhsa_float_round_mode_32 0
		.amdhsa_float_round_mode_16_64 0
		.amdhsa_float_denorm_mode_32 3
		.amdhsa_float_denorm_mode_16_64 3
		.amdhsa_dx10_clamp 1
		.amdhsa_ieee_mode 1
		.amdhsa_fp16_overflow 0
		.amdhsa_tg_split 0
		.amdhsa_exception_fp_ieee_invalid_op 0
		.amdhsa_exception_fp_denorm_src 0
		.amdhsa_exception_fp_ieee_div_zero 0
		.amdhsa_exception_fp_ieee_overflow 0
		.amdhsa_exception_fp_ieee_underflow 0
		.amdhsa_exception_fp_ieee_inexact 0
		.amdhsa_exception_int_div_zero 0
	.end_amdhsa_kernel
	.text
.Lfunc_end0:
	.size	bluestein_single_fwd_len1701_dim1_dp_op_CI_CI, .Lfunc_end0-bluestein_single_fwd_len1701_dim1_dp_op_CI_CI
                                        ; -- End function
	.section	.AMDGPU.csdata,"",@progbits
; Kernel info:
; codeLenInByte = 39748
; NumSgprs: 34
; NumVgprs: 256
; NumAgprs: 256
; TotalNumVgprs: 512
; ScratchSize: 848
; MemoryBound: 0
; FloatMode: 240
; IeeeMode: 1
; LDSByteSize: 27216 bytes/workgroup (compile time only)
; SGPRBlocks: 4
; VGPRBlocks: 63
; NumSGPRsForWavesPerEU: 34
; NumVGPRsForWavesPerEU: 512
; AccumOffset: 256
; Occupancy: 1
; WaveLimiterHint : 1
; COMPUTE_PGM_RSRC2:SCRATCH_EN: 1
; COMPUTE_PGM_RSRC2:USER_SGPR: 2
; COMPUTE_PGM_RSRC2:TRAP_HANDLER: 0
; COMPUTE_PGM_RSRC2:TGID_X_EN: 1
; COMPUTE_PGM_RSRC2:TGID_Y_EN: 0
; COMPUTE_PGM_RSRC2:TGID_Z_EN: 0
; COMPUTE_PGM_RSRC2:TIDIG_COMP_CNT: 0
; COMPUTE_PGM_RSRC3_GFX90A:ACCUM_OFFSET: 63
; COMPUTE_PGM_RSRC3_GFX90A:TG_SPLIT: 0
	.text
	.p2alignl 6, 3212836864
	.fill 256, 4, 3212836864
	.type	__hip_cuid_930d20cdd98c1ac1,@object ; @__hip_cuid_930d20cdd98c1ac1
	.section	.bss,"aw",@nobits
	.globl	__hip_cuid_930d20cdd98c1ac1
__hip_cuid_930d20cdd98c1ac1:
	.byte	0                               ; 0x0
	.size	__hip_cuid_930d20cdd98c1ac1, 1

	.ident	"AMD clang version 19.0.0git (https://github.com/RadeonOpenCompute/llvm-project roc-6.4.0 25133 c7fe45cf4b819c5991fe208aaa96edf142730f1d)"
	.section	".note.GNU-stack","",@progbits
	.addrsig
	.addrsig_sym __hip_cuid_930d20cdd98c1ac1
	.amdgpu_metadata
---
amdhsa.kernels:
  - .agpr_count:     256
    .args:
      - .actual_access:  read_only
        .address_space:  global
        .offset:         0
        .size:           8
        .value_kind:     global_buffer
      - .actual_access:  read_only
        .address_space:  global
        .offset:         8
        .size:           8
        .value_kind:     global_buffer
      - .actual_access:  read_only
        .address_space:  global
        .offset:         16
        .size:           8
        .value_kind:     global_buffer
      - .actual_access:  read_only
        .address_space:  global
        .offset:         24
        .size:           8
        .value_kind:     global_buffer
      - .actual_access:  read_only
        .address_space:  global
        .offset:         32
        .size:           8
        .value_kind:     global_buffer
      - .offset:         40
        .size:           8
        .value_kind:     by_value
      - .address_space:  global
        .offset:         48
        .size:           8
        .value_kind:     global_buffer
      - .address_space:  global
        .offset:         56
        .size:           8
        .value_kind:     global_buffer
      - .address_space:  global
        .offset:         64
        .size:           8
        .value_kind:     global_buffer
      - .address_space:  global
        .offset:         72
        .size:           8
        .value_kind:     global_buffer
      - .offset:         80
        .size:           4
        .value_kind:     by_value
      - .address_space:  global
        .offset:         88
        .size:           8
        .value_kind:     global_buffer
      - .address_space:  global
        .offset:         96
        .size:           8
        .value_kind:     global_buffer
    .group_segment_fixed_size: 27216
    .kernarg_segment_align: 8
    .kernarg_segment_size: 104
    .language:       OpenCL C
    .language_version:
      - 2
      - 0
    .max_flat_workgroup_size: 63
    .name:           bluestein_single_fwd_len1701_dim1_dp_op_CI_CI
    .private_segment_fixed_size: 848
    .sgpr_count:     34
    .sgpr_spill_count: 0
    .symbol:         bluestein_single_fwd_len1701_dim1_dp_op_CI_CI.kd
    .uniform_work_group_size: 1
    .uses_dynamic_stack: false
    .vgpr_count:     512
    .vgpr_spill_count: 211
    .wavefront_size: 64
amdhsa.target:   amdgcn-amd-amdhsa--gfx950
amdhsa.version:
  - 1
  - 2
...

	.end_amdgpu_metadata
